;; amdgpu-corpus repo=ROCm/rocFFT kind=compiled arch=gfx1201 opt=O3
	.text
	.amdgcn_target "amdgcn-amd-amdhsa--gfx1201"
	.amdhsa_code_object_version 6
	.protected	fft_rtc_fwd_len1700_factors_17_10_10_wgs_170_tpt_170_halfLds_half_op_CI_CI_unitstride_sbrr_C2R_dirReg ; -- Begin function fft_rtc_fwd_len1700_factors_17_10_10_wgs_170_tpt_170_halfLds_half_op_CI_CI_unitstride_sbrr_C2R_dirReg
	.globl	fft_rtc_fwd_len1700_factors_17_10_10_wgs_170_tpt_170_halfLds_half_op_CI_CI_unitstride_sbrr_C2R_dirReg
	.p2align	8
	.type	fft_rtc_fwd_len1700_factors_17_10_10_wgs_170_tpt_170_halfLds_half_op_CI_CI_unitstride_sbrr_C2R_dirReg,@function
fft_rtc_fwd_len1700_factors_17_10_10_wgs_170_tpt_170_halfLds_half_op_CI_CI_unitstride_sbrr_C2R_dirReg: ; @fft_rtc_fwd_len1700_factors_17_10_10_wgs_170_tpt_170_halfLds_half_op_CI_CI_unitstride_sbrr_C2R_dirReg
; %bb.0:
	s_clause 0x2
	s_load_b128 s[8:11], s[0:1], 0x0
	s_load_b128 s[4:7], s[0:1], 0x58
	;; [unrolled: 1-line block ×3, first 2 shown]
	v_mul_u32_u24_e32 v1, 0x182, v0
	v_mov_b32_e32 v3, 0
	v_mov_b32_e32 v7, 0
	;; [unrolled: 1-line block ×3, first 2 shown]
	s_delay_alu instid0(VALU_DEP_4) | instskip(NEXT) | instid1(VALU_DEP_1)
	v_lshrrev_b32_e32 v1, 16, v1
	v_dual_mov_b32 v10, v3 :: v_dual_add_nc_u32 v9, ttmp9, v1
	s_wait_kmcnt 0x0
	v_cmp_lt_u64_e64 s2, s[10:11], 2
	s_delay_alu instid0(VALU_DEP_1)
	s_and_b32 vcc_lo, exec_lo, s2
	s_cbranch_vccnz .LBB0_8
; %bb.1:
	s_load_b64 s[2:3], s[0:1], 0x10
	v_mov_b32_e32 v7, 0
	v_mov_b32_e32 v8, 0
	s_delay_alu instid0(VALU_DEP_2)
	v_mov_b32_e32 v1, v7
	s_add_nc_u64 s[16:17], s[14:15], 8
	s_add_nc_u64 s[18:19], s[12:13], 8
	s_mov_b64 s[20:21], 1
	v_mov_b32_e32 v2, v8
	s_wait_kmcnt 0x0
	s_add_nc_u64 s[22:23], s[2:3], 8
	s_mov_b32 s3, 0
.LBB0_2:                                ; =>This Inner Loop Header: Depth=1
	s_load_b64 s[24:25], s[22:23], 0x0
                                        ; implicit-def: $vgpr5_vgpr6
	s_mov_b32 s2, exec_lo
	s_wait_kmcnt 0x0
	v_or_b32_e32 v4, s25, v10
	s_delay_alu instid0(VALU_DEP_1)
	v_cmpx_ne_u64_e32 0, v[3:4]
	s_wait_alu 0xfffe
	s_xor_b32 s26, exec_lo, s2
	s_cbranch_execz .LBB0_4
; %bb.3:                                ;   in Loop: Header=BB0_2 Depth=1
	s_cvt_f32_u32 s2, s24
	s_cvt_f32_u32 s27, s25
	s_sub_nc_u64 s[30:31], 0, s[24:25]
	s_wait_alu 0xfffe
	s_delay_alu instid0(SALU_CYCLE_1) | instskip(SKIP_1) | instid1(SALU_CYCLE_2)
	s_fmamk_f32 s2, s27, 0x4f800000, s2
	s_wait_alu 0xfffe
	v_s_rcp_f32 s2, s2
	s_delay_alu instid0(TRANS32_DEP_1) | instskip(SKIP_1) | instid1(SALU_CYCLE_2)
	s_mul_f32 s2, s2, 0x5f7ffffc
	s_wait_alu 0xfffe
	s_mul_f32 s27, s2, 0x2f800000
	s_wait_alu 0xfffe
	s_delay_alu instid0(SALU_CYCLE_2) | instskip(SKIP_1) | instid1(SALU_CYCLE_2)
	s_trunc_f32 s27, s27
	s_wait_alu 0xfffe
	s_fmamk_f32 s2, s27, 0xcf800000, s2
	s_cvt_u32_f32 s29, s27
	s_wait_alu 0xfffe
	s_delay_alu instid0(SALU_CYCLE_1) | instskip(SKIP_1) | instid1(SALU_CYCLE_2)
	s_cvt_u32_f32 s28, s2
	s_wait_alu 0xfffe
	s_mul_u64 s[34:35], s[30:31], s[28:29]
	s_wait_alu 0xfffe
	s_mul_hi_u32 s37, s28, s35
	s_mul_i32 s36, s28, s35
	s_mul_hi_u32 s2, s28, s34
	s_mul_i32 s33, s29, s34
	s_wait_alu 0xfffe
	s_add_nc_u64 s[36:37], s[2:3], s[36:37]
	s_mul_hi_u32 s27, s29, s34
	s_mul_hi_u32 s38, s29, s35
	s_add_co_u32 s2, s36, s33
	s_wait_alu 0xfffe
	s_add_co_ci_u32 s2, s37, s27
	s_mul_i32 s34, s29, s35
	s_add_co_ci_u32 s35, s38, 0
	s_wait_alu 0xfffe
	s_add_nc_u64 s[34:35], s[2:3], s[34:35]
	s_wait_alu 0xfffe
	v_add_co_u32 v4, s2, s28, s34
	s_delay_alu instid0(VALU_DEP_1) | instskip(SKIP_1) | instid1(VALU_DEP_1)
	s_cmp_lg_u32 s2, 0
	s_add_co_ci_u32 s29, s29, s35
	v_readfirstlane_b32 s28, v4
	s_wait_alu 0xfffe
	s_delay_alu instid0(VALU_DEP_1)
	s_mul_u64 s[30:31], s[30:31], s[28:29]
	s_wait_alu 0xfffe
	s_mul_hi_u32 s35, s28, s31
	s_mul_i32 s34, s28, s31
	s_mul_hi_u32 s2, s28, s30
	s_mul_i32 s33, s29, s30
	s_wait_alu 0xfffe
	s_add_nc_u64 s[34:35], s[2:3], s[34:35]
	s_mul_hi_u32 s27, s29, s30
	s_mul_hi_u32 s28, s29, s31
	s_wait_alu 0xfffe
	s_add_co_u32 s2, s34, s33
	s_add_co_ci_u32 s2, s35, s27
	s_mul_i32 s30, s29, s31
	s_add_co_ci_u32 s31, s28, 0
	s_wait_alu 0xfffe
	s_add_nc_u64 s[30:31], s[2:3], s[30:31]
	s_wait_alu 0xfffe
	v_add_co_u32 v6, s2, v4, s30
	s_delay_alu instid0(VALU_DEP_1) | instskip(SKIP_1) | instid1(VALU_DEP_1)
	s_cmp_lg_u32 s2, 0
	s_add_co_ci_u32 s2, s29, s31
	v_mul_hi_u32 v15, v9, v6
	s_wait_alu 0xfffe
	v_mad_co_u64_u32 v[4:5], null, v9, s2, 0
	v_mad_co_u64_u32 v[11:12], null, v10, v6, 0
	;; [unrolled: 1-line block ×3, first 2 shown]
	s_delay_alu instid0(VALU_DEP_3) | instskip(SKIP_1) | instid1(VALU_DEP_4)
	v_add_co_u32 v4, vcc_lo, v15, v4
	s_wait_alu 0xfffd
	v_add_co_ci_u32_e32 v5, vcc_lo, 0, v5, vcc_lo
	s_delay_alu instid0(VALU_DEP_2) | instskip(SKIP_1) | instid1(VALU_DEP_2)
	v_add_co_u32 v4, vcc_lo, v4, v11
	s_wait_alu 0xfffd
	v_add_co_ci_u32_e32 v4, vcc_lo, v5, v12, vcc_lo
	s_wait_alu 0xfffd
	v_add_co_ci_u32_e32 v5, vcc_lo, 0, v14, vcc_lo
	s_delay_alu instid0(VALU_DEP_2) | instskip(SKIP_1) | instid1(VALU_DEP_2)
	v_add_co_u32 v11, vcc_lo, v4, v13
	s_wait_alu 0xfffd
	v_add_co_ci_u32_e32 v6, vcc_lo, 0, v5, vcc_lo
	s_delay_alu instid0(VALU_DEP_2) | instskip(SKIP_1) | instid1(VALU_DEP_3)
	v_mul_lo_u32 v12, s25, v11
	v_mad_co_u64_u32 v[4:5], null, s24, v11, 0
	v_mul_lo_u32 v13, s24, v6
	s_delay_alu instid0(VALU_DEP_2) | instskip(NEXT) | instid1(VALU_DEP_2)
	v_sub_co_u32 v4, vcc_lo, v9, v4
	v_add3_u32 v5, v5, v13, v12
	s_delay_alu instid0(VALU_DEP_1) | instskip(SKIP_1) | instid1(VALU_DEP_1)
	v_sub_nc_u32_e32 v12, v10, v5
	s_wait_alu 0xfffd
	v_subrev_co_ci_u32_e64 v12, s2, s25, v12, vcc_lo
	v_add_co_u32 v13, s2, v11, 2
	s_wait_alu 0xf1ff
	v_add_co_ci_u32_e64 v14, s2, 0, v6, s2
	v_sub_co_u32 v15, s2, v4, s24
	v_sub_co_ci_u32_e32 v5, vcc_lo, v10, v5, vcc_lo
	s_wait_alu 0xf1ff
	v_subrev_co_ci_u32_e64 v12, s2, 0, v12, s2
	s_delay_alu instid0(VALU_DEP_3) | instskip(NEXT) | instid1(VALU_DEP_3)
	v_cmp_le_u32_e32 vcc_lo, s24, v15
	v_cmp_eq_u32_e64 s2, s25, v5
	s_wait_alu 0xfffd
	v_cndmask_b32_e64 v15, 0, -1, vcc_lo
	v_cmp_le_u32_e32 vcc_lo, s25, v12
	s_wait_alu 0xfffd
	v_cndmask_b32_e64 v16, 0, -1, vcc_lo
	v_cmp_le_u32_e32 vcc_lo, s24, v4
	;; [unrolled: 3-line block ×3, first 2 shown]
	s_wait_alu 0xfffd
	v_cndmask_b32_e64 v17, 0, -1, vcc_lo
	v_cmp_eq_u32_e32 vcc_lo, s25, v12
	s_wait_alu 0xf1ff
	s_delay_alu instid0(VALU_DEP_2)
	v_cndmask_b32_e64 v4, v17, v4, s2
	s_wait_alu 0xfffd
	v_cndmask_b32_e32 v12, v16, v15, vcc_lo
	v_add_co_u32 v15, vcc_lo, v11, 1
	s_wait_alu 0xfffd
	v_add_co_ci_u32_e32 v16, vcc_lo, 0, v6, vcc_lo
	s_delay_alu instid0(VALU_DEP_3) | instskip(SKIP_1) | instid1(VALU_DEP_2)
	v_cmp_ne_u32_e32 vcc_lo, 0, v12
	s_wait_alu 0xfffd
	v_dual_cndmask_b32 v5, v16, v14 :: v_dual_cndmask_b32 v12, v15, v13
	v_cmp_ne_u32_e32 vcc_lo, 0, v4
	s_wait_alu 0xfffd
	s_delay_alu instid0(VALU_DEP_2)
	v_dual_cndmask_b32 v6, v6, v5 :: v_dual_cndmask_b32 v5, v11, v12
.LBB0_4:                                ;   in Loop: Header=BB0_2 Depth=1
	s_wait_alu 0xfffe
	s_and_not1_saveexec_b32 s2, s26
	s_cbranch_execz .LBB0_6
; %bb.5:                                ;   in Loop: Header=BB0_2 Depth=1
	v_cvt_f32_u32_e32 v4, s24
	s_sub_co_i32 s26, 0, s24
	s_delay_alu instid0(VALU_DEP_1) | instskip(NEXT) | instid1(TRANS32_DEP_1)
	v_rcp_iflag_f32_e32 v4, v4
	v_mul_f32_e32 v4, 0x4f7ffffe, v4
	s_delay_alu instid0(VALU_DEP_1) | instskip(SKIP_1) | instid1(VALU_DEP_1)
	v_cvt_u32_f32_e32 v4, v4
	s_wait_alu 0xfffe
	v_mul_lo_u32 v5, s26, v4
	s_delay_alu instid0(VALU_DEP_1) | instskip(NEXT) | instid1(VALU_DEP_1)
	v_mul_hi_u32 v5, v4, v5
	v_add_nc_u32_e32 v4, v4, v5
	s_delay_alu instid0(VALU_DEP_1) | instskip(NEXT) | instid1(VALU_DEP_1)
	v_mul_hi_u32 v4, v9, v4
	v_mul_lo_u32 v5, v4, s24
	v_add_nc_u32_e32 v6, 1, v4
	s_delay_alu instid0(VALU_DEP_2) | instskip(NEXT) | instid1(VALU_DEP_1)
	v_sub_nc_u32_e32 v5, v9, v5
	v_subrev_nc_u32_e32 v11, s24, v5
	v_cmp_le_u32_e32 vcc_lo, s24, v5
	s_wait_alu 0xfffd
	s_delay_alu instid0(VALU_DEP_2) | instskip(NEXT) | instid1(VALU_DEP_1)
	v_dual_cndmask_b32 v5, v5, v11 :: v_dual_cndmask_b32 v4, v4, v6
	v_cmp_le_u32_e32 vcc_lo, s24, v5
	s_delay_alu instid0(VALU_DEP_2) | instskip(SKIP_1) | instid1(VALU_DEP_1)
	v_add_nc_u32_e32 v6, 1, v4
	s_wait_alu 0xfffd
	v_dual_cndmask_b32 v5, v4, v6 :: v_dual_mov_b32 v6, v3
.LBB0_6:                                ;   in Loop: Header=BB0_2 Depth=1
	s_wait_alu 0xfffe
	s_or_b32 exec_lo, exec_lo, s2
	s_delay_alu instid0(VALU_DEP_1) | instskip(NEXT) | instid1(VALU_DEP_2)
	v_mul_lo_u32 v4, v6, s24
	v_mul_lo_u32 v13, v5, s25
	s_load_b64 s[26:27], s[18:19], 0x0
	v_mad_co_u64_u32 v[11:12], null, v5, s24, 0
	s_load_b64 s[24:25], s[16:17], 0x0
	s_add_nc_u64 s[20:21], s[20:21], 1
	s_add_nc_u64 s[16:17], s[16:17], 8
	s_wait_alu 0xfffe
	v_cmp_ge_u64_e64 s2, s[20:21], s[10:11]
	s_add_nc_u64 s[18:19], s[18:19], 8
	s_add_nc_u64 s[22:23], s[22:23], 8
	v_add3_u32 v4, v12, v13, v4
	v_sub_co_u32 v9, vcc_lo, v9, v11
	s_wait_alu 0xfffd
	s_delay_alu instid0(VALU_DEP_2) | instskip(SKIP_2) | instid1(VALU_DEP_1)
	v_sub_co_ci_u32_e32 v4, vcc_lo, v10, v4, vcc_lo
	s_and_b32 vcc_lo, exec_lo, s2
	s_wait_kmcnt 0x0
	v_mul_lo_u32 v10, s26, v4
	v_mul_lo_u32 v11, s27, v9
	v_mad_co_u64_u32 v[7:8], null, s26, v9, v[7:8]
	v_mul_lo_u32 v4, s24, v4
	v_mul_lo_u32 v12, s25, v9
	v_mad_co_u64_u32 v[1:2], null, s24, v9, v[1:2]
	s_delay_alu instid0(VALU_DEP_4) | instskip(NEXT) | instid1(VALU_DEP_2)
	v_add3_u32 v8, v11, v8, v10
	v_add3_u32 v2, v12, v2, v4
	s_wait_alu 0xfffe
	s_cbranch_vccnz .LBB0_9
; %bb.7:                                ;   in Loop: Header=BB0_2 Depth=1
	v_dual_mov_b32 v10, v6 :: v_dual_mov_b32 v9, v5
	s_branch .LBB0_2
.LBB0_8:
	v_dual_mov_b32 v1, v7 :: v_dual_mov_b32 v2, v8
	v_dual_mov_b32 v5, v9 :: v_dual_mov_b32 v6, v10
.LBB0_9:
	s_load_b64 s[0:1], s[0:1], 0x28
	v_mul_hi_u32 v4, 0x1818182, v0
	s_lshl_b64 s[10:11], s[10:11], 3
                                        ; implicit-def: $vgpr3
	s_wait_alu 0xfffe
	s_add_nc_u64 s[2:3], s[14:15], s[10:11]
	s_wait_kmcnt 0x0
	v_cmp_gt_u64_e32 vcc_lo, s[0:1], v[5:6]
	v_cmp_le_u64_e64 s0, s[0:1], v[5:6]
	s_delay_alu instid0(VALU_DEP_1)
	s_and_saveexec_b32 s1, s0
	s_wait_alu 0xfffe
	s_xor_b32 s0, exec_lo, s1
; %bb.10:
	v_mul_u32_u24_e32 v3, 0xaa, v4
                                        ; implicit-def: $vgpr4
                                        ; implicit-def: $vgpr7_vgpr8
	s_delay_alu instid0(VALU_DEP_1)
	v_sub_nc_u32_e32 v3, v0, v3
                                        ; implicit-def: $vgpr0
; %bb.11:
	s_wait_alu 0xfffe
	s_or_saveexec_b32 s1, s0
	s_load_b64 s[2:3], s[2:3], 0x0
	s_xor_b32 exec_lo, exec_lo, s1
	s_cbranch_execz .LBB0_15
; %bb.12:
	s_add_nc_u64 s[10:11], s[12:13], s[10:11]
	v_lshlrev_b64_e32 v[7:8], 2, v[7:8]
	s_load_b64 s[10:11], s[10:11], 0x0
	s_wait_kmcnt 0x0
	v_mul_lo_u32 v3, s11, v5
	v_mul_lo_u32 v11, s10, v6
	v_mad_co_u64_u32 v[9:10], null, s10, v5, 0
	s_delay_alu instid0(VALU_DEP_1) | instskip(SKIP_1) | instid1(VALU_DEP_2)
	v_add3_u32 v10, v10, v11, v3
	v_mul_u32_u24_e32 v3, 0xaa, v4
	v_lshlrev_b64_e32 v[9:10], 2, v[9:10]
	s_delay_alu instid0(VALU_DEP_2) | instskip(NEXT) | instid1(VALU_DEP_1)
	v_sub_nc_u32_e32 v3, v0, v3
	v_lshlrev_b32_e32 v11, 2, v3
	s_delay_alu instid0(VALU_DEP_3) | instskip(SKIP_1) | instid1(VALU_DEP_4)
	v_add_co_u32 v0, s0, s4, v9
	s_wait_alu 0xf1ff
	v_add_co_ci_u32_e64 v4, s0, s5, v10, s0
	s_mov_b32 s4, exec_lo
	s_delay_alu instid0(VALU_DEP_2) | instskip(SKIP_1) | instid1(VALU_DEP_2)
	v_add_co_u32 v7, s0, v0, v7
	s_wait_alu 0xf1ff
	v_add_co_ci_u32_e64 v8, s0, v4, v8, s0
	s_delay_alu instid0(VALU_DEP_2) | instskip(SKIP_1) | instid1(VALU_DEP_2)
	v_add_co_u32 v9, s0, v7, v11
	s_wait_alu 0xf1ff
	v_add_co_ci_u32_e64 v10, s0, 0, v8, s0
	s_clause 0x9
	global_load_b32 v0, v[9:10], off
	global_load_b32 v4, v[9:10], off offset:680
	global_load_b32 v12, v[9:10], off offset:1360
	;; [unrolled: 1-line block ×9, first 2 shown]
	v_add_nc_u32_e32 v10, 0, v11
	s_delay_alu instid0(VALU_DEP_1)
	v_add_nc_u32_e32 v11, 0x400, v10
	v_add_nc_u32_e32 v19, 0xa00, v10
	;; [unrolled: 1-line block ×4, first 2 shown]
	s_wait_loadcnt 0x8
	ds_store_2addr_b32 v10, v0, v4 offset1:170
	s_wait_loadcnt 0x6
	ds_store_2addr_b32 v11, v12, v13 offset0:84 offset1:254
	s_wait_loadcnt 0x4
	ds_store_2addr_b32 v19, v14, v15 offset0:40 offset1:210
	;; [unrolled: 2-line block ×4, first 2 shown]
	v_cmpx_eq_u32_e32 0xa9, v3
	s_cbranch_execz .LBB0_14
; %bb.13:
	global_load_b32 v0, v[7:8], off offset:6800
	v_dual_mov_b32 v4, 0 :: v_dual_mov_b32 v3, 0xa9
	s_wait_loadcnt 0x0
	ds_store_b32 v4, v0 offset:6800
.LBB0_14:
	s_wait_alu 0xfffe
	s_or_b32 exec_lo, exec_lo, s4
.LBB0_15:
	s_delay_alu instid0(SALU_CYCLE_1)
	s_or_b32 exec_lo, exec_lo, s1
	v_lshlrev_b32_e32 v4, 2, v3
	global_wb scope:SCOPE_SE
	s_wait_dscnt 0x0
	s_wait_kmcnt 0x0
	s_barrier_signal -1
	s_barrier_wait -1
	global_inv scope:SCOPE_SE
	v_add_nc_u32_e32 v0, 0, v4
	v_sub_nc_u32_e32 v9, 0, v4
	s_mov_b32 s1, exec_lo
                                        ; implicit-def: $vgpr7_vgpr8
	ds_load_u16 v12, v0
	ds_load_u16 v13, v9 offset:6800
	s_wait_dscnt 0x0
	v_add_f16_e32 v11, v13, v12
	v_sub_f16_e32 v10, v12, v13
	v_cmpx_ne_u32_e32 0, v3
	s_wait_alu 0xfffe
	s_xor_b32 s1, exec_lo, s1
	s_cbranch_execz .LBB0_17
; %bb.16:
	v_mov_b32_e32 v4, 0
	v_add_f16_e32 v11, v13, v12
	v_sub_f16_e32 v12, v12, v13
	s_delay_alu instid0(VALU_DEP_3) | instskip(NEXT) | instid1(VALU_DEP_1)
	v_lshlrev_b64_e32 v[7:8], 2, v[3:4]
	v_add_co_u32 v7, s0, s8, v7
	s_wait_alu 0xf1ff
	s_delay_alu instid0(VALU_DEP_2)
	v_add_co_ci_u32_e64 v8, s0, s9, v8, s0
	global_load_b32 v7, v[7:8], off offset:6732
	ds_load_u16 v8, v9 offset:6802
	ds_load_u16 v10, v0 offset:2
	s_wait_dscnt 0x0
	v_add_f16_e32 v13, v8, v10
	v_sub_f16_e32 v8, v10, v8
	s_wait_loadcnt 0x0
	v_lshrrev_b32_e32 v14, 16, v7
	s_delay_alu instid0(VALU_DEP_1) | instskip(NEXT) | instid1(VALU_DEP_3)
	v_fma_f16 v15, -v12, v14, v11
	v_fma_f16 v16, v13, v14, -v8
	v_fma_f16 v10, v13, v14, v8
	v_fma_f16 v11, v12, v14, v11
	s_delay_alu instid0(VALU_DEP_4) | instskip(NEXT) | instid1(VALU_DEP_4)
	v_fmac_f16_e32 v15, v7, v13
	v_fmac_f16_e32 v16, v12, v7
	s_delay_alu instid0(VALU_DEP_4) | instskip(NEXT) | instid1(VALU_DEP_4)
	v_fmac_f16_e32 v10, v12, v7
	v_fma_f16 v11, -v7, v13, v11
	v_dual_mov_b32 v8, v4 :: v_dual_mov_b32 v7, v3
	s_delay_alu instid0(VALU_DEP_4)
	v_pack_b32_f16 v12, v15, v16
	ds_store_b32 v9, v12 offset:6800
.LBB0_17:
	s_wait_alu 0xfffe
	s_and_not1_saveexec_b32 s0, s1
	s_cbranch_execz .LBB0_19
; %bb.18:
	v_mov_b32_e32 v4, 0
	ds_load_b32 v7, v4 offset:3400
	s_wait_dscnt 0x0
	v_pk_mul_f16 v12, 0xc0004000, v7
	v_mov_b32_e32 v7, 0
	v_mov_b32_e32 v8, 0
	ds_store_b32 v4, v12 offset:3400
.LBB0_19:
	s_wait_alu 0xfffe
	s_or_b32 exec_lo, exec_lo, s0
	v_lshlrev_b64_e32 v[7:8], 2, v[7:8]
	s_add_nc_u64 s[0:1], s[8:9], 0x1a4c
	v_add_nc_u32_e32 v23, 0x1400, v0
	s_wait_alu 0xfffe
	s_delay_alu instid0(VALU_DEP_2)
	v_add_co_u32 v7, s0, s0, v7
	s_wait_alu 0xf1ff
	v_add_co_ci_u32_e64 v8, s0, s1, v8, s0
	s_mov_b32 s1, exec_lo
	s_clause 0x3
	global_load_b32 v4, v[7:8], off offset:680
	global_load_b32 v12, v[7:8], off offset:1360
	;; [unrolled: 1-line block ×4, first 2 shown]
	v_perm_b32 v8, v10, v11, 0x5040100
	ds_store_b32 v0, v8
	ds_load_b32 v8, v0 offset:680
	ds_load_b32 v10, v9 offset:6120
	s_wait_dscnt 0x1
	v_lshrrev_b32_e32 v11, 16, v8
	s_wait_dscnt 0x0
	v_lshrrev_b32_e32 v14, 16, v10
	v_add_f16_e32 v15, v8, v10
	v_sub_f16_e32 v8, v8, v10
	s_delay_alu instid0(VALU_DEP_3) | instskip(SKIP_3) | instid1(VALU_DEP_1)
	v_add_f16_e32 v10, v14, v11
	v_sub_f16_e32 v11, v11, v14
	s_wait_loadcnt 0x3
	v_lshrrev_b32_e32 v16, 16, v4
	v_fma_f16 v14, v8, v16, v15
	s_delay_alu instid0(VALU_DEP_3) | instskip(SKIP_2) | instid1(VALU_DEP_4)
	v_fma_f16 v17, v10, v16, v11
	v_fma_f16 v15, -v8, v16, v15
	v_fma_f16 v11, v10, v16, -v11
	v_fma_f16 v14, -v4, v10, v14
	s_delay_alu instid0(VALU_DEP_4) | instskip(NEXT) | instid1(VALU_DEP_4)
	v_fmac_f16_e32 v17, v8, v4
	v_fmac_f16_e32 v15, v4, v10
	s_delay_alu instid0(VALU_DEP_4) | instskip(NEXT) | instid1(VALU_DEP_3)
	v_fmac_f16_e32 v11, v8, v4
	v_pack_b32_f16 v4, v14, v17
	s_wait_loadcnt 0x2
	v_lshrrev_b32_e32 v14, 16, v12
	s_delay_alu instid0(VALU_DEP_3)
	v_pack_b32_f16 v8, v15, v11
	ds_store_b32 v0, v4 offset:680
	ds_store_b32 v9, v8 offset:6120
	ds_load_b32 v4, v0 offset:1360
	ds_load_b32 v8, v9 offset:5440
	s_wait_dscnt 0x1
	v_lshrrev_b32_e32 v10, 16, v4
	s_wait_dscnt 0x0
	v_lshrrev_b32_e32 v11, 16, v8
	v_add_f16_e32 v15, v4, v8
	v_sub_f16_e32 v4, v4, v8
	s_delay_alu instid0(VALU_DEP_3) | instskip(SKIP_1) | instid1(VALU_DEP_3)
	v_add_f16_e32 v8, v11, v10
	v_sub_f16_e32 v10, v10, v11
	v_fma_f16 v11, v4, v14, v15
	v_fma_f16 v15, -v4, v14, v15
	s_delay_alu instid0(VALU_DEP_3) | instskip(SKIP_1) | instid1(VALU_DEP_4)
	v_fma_f16 v16, v8, v14, v10
	v_fma_f16 v10, v8, v14, -v10
	v_fma_f16 v11, -v12, v8, v11
	s_delay_alu instid0(VALU_DEP_4) | instskip(NEXT) | instid1(VALU_DEP_4)
	v_fmac_f16_e32 v15, v12, v8
	v_fmac_f16_e32 v16, v4, v12
	s_delay_alu instid0(VALU_DEP_4) | instskip(SKIP_2) | instid1(VALU_DEP_3)
	v_fmac_f16_e32 v10, v4, v12
	s_wait_loadcnt 0x1
	v_lshrrev_b32_e32 v12, 16, v13
	v_pack_b32_f16 v4, v11, v16
	s_delay_alu instid0(VALU_DEP_3)
	v_pack_b32_f16 v8, v15, v10
	ds_store_b32 v0, v4 offset:1360
	ds_store_b32 v9, v8 offset:5440
	ds_load_b32 v4, v0 offset:2040
	ds_load_b32 v8, v9 offset:4760
	v_add_nc_u32_e32 v16, 0xc00, v0
	s_wait_dscnt 0x1
	v_lshrrev_b32_e32 v10, 16, v4
	s_wait_dscnt 0x0
	v_lshrrev_b32_e32 v11, 16, v8
	v_add_f16_e32 v14, v4, v8
	v_sub_f16_e32 v4, v4, v8
	s_delay_alu instid0(VALU_DEP_3) | instskip(SKIP_1) | instid1(VALU_DEP_3)
	v_add_f16_e32 v8, v11, v10
	v_sub_f16_e32 v10, v10, v11
	v_fma_f16 v11, v4, v12, v14
	v_fma_f16 v14, -v4, v12, v14
	s_delay_alu instid0(VALU_DEP_3) | instskip(SKIP_1) | instid1(VALU_DEP_4)
	v_fma_f16 v15, v8, v12, v10
	v_fma_f16 v10, v8, v12, -v10
	v_fma_f16 v11, -v13, v8, v11
	s_delay_alu instid0(VALU_DEP_4) | instskip(SKIP_4) | instid1(VALU_DEP_2)
	v_fmac_f16_e32 v14, v13, v8
	s_wait_loadcnt 0x0
	v_lshrrev_b32_e32 v12, 16, v7
	v_fmac_f16_e32 v15, v4, v13
	v_fmac_f16_e32 v10, v4, v13
	v_pack_b32_f16 v4, v11, v15
	s_delay_alu instid0(VALU_DEP_2)
	v_pack_b32_f16 v8, v14, v10
	ds_store_b32 v0, v4 offset:2040
	ds_store_b32 v9, v8 offset:4760
	ds_load_b32 v4, v0 offset:2720
	ds_load_b32 v8, v9 offset:4080
	v_add_nc_u32_e32 v15, 0x800, v0
	s_wait_dscnt 0x1
	v_lshrrev_b32_e32 v10, 16, v4
	s_wait_dscnt 0x0
	v_lshrrev_b32_e32 v11, 16, v8
	v_add_f16_e32 v13, v4, v8
	v_sub_f16_e32 v4, v4, v8
	s_delay_alu instid0(VALU_DEP_3) | instskip(SKIP_1) | instid1(VALU_DEP_3)
	v_add_f16_e32 v8, v11, v10
	v_sub_f16_e32 v10, v10, v11
	v_fma_f16 v11, v4, v12, v13
	v_fma_f16 v13, -v4, v12, v13
	s_delay_alu instid0(VALU_DEP_3) | instskip(SKIP_1) | instid1(VALU_DEP_4)
	v_fma_f16 v14, v8, v12, v10
	v_fma_f16 v10, v8, v12, -v10
	v_fma_f16 v11, -v7, v8, v11
	s_delay_alu instid0(VALU_DEP_4) | instskip(SKIP_4) | instid1(VALU_DEP_3)
	v_fmac_f16_e32 v13, v7, v8
	v_add_nc_u32_e32 v12, 0x200, v0
	v_fmac_f16_e32 v14, v4, v7
	v_fmac_f16_e32 v10, v4, v7
	v_add_nc_u32_e32 v4, 0x400, v0
	v_pack_b32_f16 v7, v11, v14
	s_delay_alu instid0(VALU_DEP_3)
	v_pack_b32_f16 v8, v13, v10
	v_add_nc_u32_e32 v10, 0xe00, v0
	v_add_nc_u32_e32 v11, 0x1200, v0
	ds_store_b32 v0, v7 offset:2720
	ds_store_b32 v9, v8 offset:4080
	global_wb scope:SCOPE_SE
	s_wait_dscnt 0x0
	s_barrier_signal -1
	s_barrier_wait -1
	global_inv scope:SCOPE_SE
	global_wb scope:SCOPE_SE
	s_barrier_signal -1
	s_barrier_wait -1
	global_inv scope:SCOPE_SE
	ds_load_2addr_b32 v[7:8], v0 offset1:100
	ds_load_2addr_b32 v[21:22], v12 offset0:72 offset1:172
	ds_load_2addr_b32 v[19:20], v4 offset0:144 offset1:244
	;; [unrolled: 1-line block ×7, first 2 shown]
	ds_load_b32 v41, v0 offset:6400
	global_wb scope:SCOPE_SE
	s_wait_dscnt 0x0
	s_barrier_signal -1
	s_barrier_wait -1
	global_inv scope:SCOPE_SE
	v_cmpx_gt_u32_e32 0x64, v3
	s_cbranch_execz .LBB0_21
; %bb.20:
	v_pk_add_f16 v24, v7, v8
	v_pk_add_f16 v32, v8, v41 neg_lo:[0,1] neg_hi:[0,1]
	v_pk_add_f16 v35, v41, v8
	v_pk_add_f16 v30, v21, v10 neg_lo:[0,1] neg_hi:[0,1]
	v_pk_add_f16 v34, v10, v21
	v_pk_add_f16 v8, v24, v21
	v_pk_add_f16 v21, v17, v14 neg_lo:[0,1] neg_hi:[0,1]
	v_pk_add_f16 v27, v14, v17
	v_mul_f16_e32 v50, 0xb836, v32
	v_lshrrev_b32_e32 v40, 16, v35
	v_pk_add_f16 v8, v8, v22
	v_pk_add_f16 v28, v22, v9 neg_lo:[0,1] neg_hi:[0,1]
	v_pk_add_f16 v33, v9, v22
	v_pk_add_f16 v24, v20, v11 neg_lo:[0,1] neg_hi:[0,1]
	v_pk_add_f16 v29, v11, v20
	v_pk_add_f16 v36, v8, v19
	v_pk_add_f16 v8, v15, v16 neg_lo:[0,1] neg_hi:[0,1]
	v_pk_add_f16 v22, v16, v15
	v_mul_f16_e32 v49, 0x3b29, v30
	v_lshrrev_b32_e32 v39, 16, v34
	v_pk_add_f16 v36, v36, v20
	v_lshrrev_b32_e32 v20, 16, v7
	v_fmamk_f16 v42, v40, 0xbacd, v50
	v_pk_add_f16 v26, v19, v12 neg_lo:[0,1] neg_hi:[0,1]
	v_pk_add_f16 v31, v12, v19
	v_pk_add_f16 v17, v36, v17
	v_mul_f16_e32 v48, 0xbbf7, v28
	v_lshrrev_b32_e32 v38, 16, v33
	v_fmamk_f16 v51, v39, 0x3722, v49
	v_add_f16_e32 v42, v20, v42
	v_pk_add_f16 v17, v17, v18
	v_pk_add_f16 v19, v18, v13 neg_lo:[0,1] neg_hi:[0,1]
	v_pk_add_f16 v25, v13, v18
	v_mul_f16_e32 v47, 0x3a62, v26
	v_lshrrev_b32_e32 v37, 16, v31
	v_pk_add_f16 v15, v17, v15
	v_add_f16_e32 v42, v51, v42
	v_mul_f16_e32 v46, 0xb5c8, v24
	v_lshrrev_b32_e32 v36, 16, v29
	v_lshrrev_b32_e32 v101, 16, v32
	v_pk_add_f16 v16, v15, v16
	v_mul_f16_e32 v45, 0xb1e1, v21
	v_lshrrev_b32_e32 v18, 16, v27
	v_lshrrev_b32_e32 v98, 16, v30
	v_mul_f16_e32 v60, 0xb836, v101
	v_pk_add_f16 v13, v16, v13
	v_fmamk_f16 v16, v38, 0x2de8, v48
	v_mul_f16_e32 v43, 0x3964, v19
	v_lshrrev_b32_e32 v17, 16, v25
	v_lshrrev_b32_e32 v99, 16, v28
	v_pk_add_f16 v13, v13, v14
	v_fmamk_f16 v14, v37, 0xb8d2, v47
	v_add_f16_e32 v16, v16, v42
	v_fmamk_f16 v42, v18, 0xbbdd, v45
	v_mul_f16_e32 v54, 0x3b29, v98
	v_pk_add_f16 v11, v13, v11
	v_fmamk_f16 v13, v36, 0x3b76, v46
	v_add_f16_e32 v14, v14, v16
	v_fma_f16 v16, v35, 0xbacd, -v60
	v_mul_f16_e32 v44, 0xbbb2, v8
	v_pk_add_f16 v11, v11, v12
	v_lshrrev_b32_e32 v15, 16, v22
	v_add_f16_e32 v13, v13, v14
	v_lshrrev_b32_e32 v94, 16, v26
	v_fmamk_f16 v12, v17, 0x39e9, v43
	v_pk_add_f16 v9, v11, v9
	v_mul_f16_e32 v52, 0xbbf7, v99
	v_fma_f16 v11, v34, 0x3722, -v54
	v_add_f16_e32 v14, v7, v16
	v_add_f16_e32 v13, v42, v13
	v_pk_add_f16 v9, v9, v10
	v_mul_f16_e32 v51, 0x3a62, v94
	v_fma_f16 v10, v33, 0x2de8, -v52
	v_add_f16_e32 v11, v11, v14
	v_add_f16_e32 v12, v12, v13
	v_fmamk_f16 v13, v15, 0xb461, v44
	v_lshrrev_b32_e32 v103, 16, v24
	v_mul_f16_e32 v69, 0xba62, v32
	v_add_f16_e32 v11, v10, v11
	v_fma_f16 v14, v31, 0xb8d2, -v51
	v_add_f16_e32 v10, v13, v12
	v_mul_f16_e32 v59, 0xb5c8, v103
	v_lshrrev_b32_e32 v104, 16, v21
	v_fmamk_f16 v12, v40, 0xb8d2, v69
	v_mul_f16_e32 v70, 0x3bb2, v30
	v_add_f16_e32 v11, v14, v11
	v_fma_f16 v13, v29, 0x3b76, -v59
	v_mul_f16_e32 v56, 0xb1e1, v104
	v_lshrrev_b32_e32 v105, 16, v19
	v_add_f16_e32 v12, v20, v12
	v_fmamk_f16 v14, v39, 0xb461, v70
	v_mul_f16_e32 v71, 0xb5c8, v28
	v_add_f16_e32 v11, v13, v11
	v_fma_f16 v13, v27, 0xbbdd, -v56
	v_mul_f16_e32 v57, 0x3964, v105
	v_add_f16_e32 v12, v14, v12
	v_fmamk_f16 v14, v38, 0x3b76, v71
	v_mul_f16_e32 v73, 0xb836, v26
	v_add_f16_e32 v11, v13, v11
	v_fma_f16 v13, v25, 0x39e9, -v57
	v_lshrrev_b32_e32 v106, 16, v8
	v_add_f16_e32 v12, v14, v12
	v_fmamk_f16 v14, v37, 0xbacd, v73
	v_mul_f16_e32 v66, 0x3bf7, v24
	v_mul_f16_e32 v76, 0xba62, v101
	v_add_f16_e32 v11, v13, v11
	v_mul_f16_e32 v58, 0xbbb2, v106
	v_add_f16_e32 v12, v14, v12
	v_fmamk_f16 v13, v36, 0x2de8, v66
	v_mul_f16_e32 v74, 0xb964, v21
	v_fma_f16 v16, v35, 0xb8d2, -v76
	v_mul_f16_e32 v77, 0x3bb2, v98
	v_pk_add_f16 v9, v9, v41
	v_fma_f16 v14, v22, 0xb461, -v58
	v_add_f16_e32 v12, v13, v12
	v_fmamk_f16 v13, v18, 0x39e9, v74
	v_mul_f16_e32 v75, 0xb1e1, v19
	v_add_f16_e32 v16, v7, v16
	v_fma_f16 v41, v34, 0xb461, -v77
	v_mul_f16_e32 v61, 0xb5c8, v99
	v_add_f16_e32 v12, v13, v12
	v_fmamk_f16 v13, v17, 0xbbdd, v75
	v_add_f16_e32 v11, v14, v11
	v_add_f16_e32 v14, v41, v16
	v_fma_f16 v16, v33, 0x3b76, -v61
	v_mul_f16_e32 v62, 0xb836, v94
	v_mul_f16_e32 v80, 0xbbb2, v32
	v_add_f16_e32 v12, v13, v12
	v_mul_f16_e32 v68, 0x3b29, v8
	v_add_f16_e32 v13, v16, v14
	v_fma_f16 v14, v31, 0xbacd, -v62
	v_mul_f16_e32 v63, 0x3bf7, v103
	v_fmamk_f16 v41, v40, 0xb461, v80
	v_mul_f16_e32 v81, 0x3836, v30
	v_fmamk_f16 v16, v15, 0x3722, v68
	v_add_f16_e32 v13, v14, v13
	v_fma_f16 v14, v29, 0x2de8, -v63
	v_mul_f16_e32 v64, 0xb964, v104
	v_add_f16_e32 v41, v20, v41
	v_fmamk_f16 v42, v39, 0xbacd, v81
	v_mul_f16_e32 v72, 0x3964, v28
	v_mul_f16_e32 v86, 0xbbb2, v101
	v_add_f16_e32 v13, v14, v13
	v_fma_f16 v14, v27, 0x39e9, -v64
	v_mul_f16_e32 v65, 0xb1e1, v105
	v_add_f16_e32 v41, v42, v41
	v_fmamk_f16 v42, v38, 0x39e9, v72
	v_mul_f16_e32 v84, 0xbb29, v26
	v_add_f16_e32 v12, v16, v12
	v_fma_f16 v16, v35, 0xb461, -v86
	v_mul_f16_e32 v92, 0x3836, v98
	v_add_f16_e32 v13, v14, v13
	v_fma_f16 v14, v25, 0xbbdd, -v65
	v_add_f16_e32 v41, v42, v41
	v_fmamk_f16 v42, v37, 0x3722, v84
	v_mul_f16_e32 v90, 0xb1e1, v24
	v_add_f16_e32 v16, v7, v16
	v_fma_f16 v53, v34, 0xbacd, -v92
	v_mul_f16_e32 v96, 0x3964, v99
	v_add_f16_e32 v13, v14, v13
	v_add_f16_e32 v14, v42, v41
	v_mul_f16_e32 v85, 0xbb29, v94
	v_add_f16_e32 v16, v53, v16
	v_fma_f16 v41, v33, 0x39e9, -v96
	v_fmamk_f16 v42, v36, 0xbbdd, v90
	v_mul_f16_e32 v102, 0x3bf7, v21
	v_mul_f16_e32 v88, 0xb1e1, v103
	;; [unrolled: 1-line block ×3, first 2 shown]
	v_add_f16_e32 v16, v41, v16
	v_fma_f16 v41, v31, 0x3722, -v85
	v_add_f16_e32 v14, v42, v14
	v_fmamk_f16 v42, v18, 0x2de8, v102
	v_mul_f16_e32 v91, 0x3b29, v106
	v_mul_f16_e32 v82, 0x3bf7, v104
	v_add_f16_e32 v16, v41, v16
	v_fma_f16 v41, v29, 0xbbdd, -v88
	v_add_f16_e32 v14, v42, v14
	v_fmamk_f16 v42, v17, 0x3b76, v95
	v_mul_f16_e32 v78, 0xba62, v8
	v_fma_f16 v53, v22, 0x3722, -v91
	v_add_f16_e32 v16, v41, v16
	v_fma_f16 v41, v27, 0x2de8, -v82
	v_mul_f16_e32 v79, 0xb5c8, v105
	v_add_f16_e32 v42, v42, v14
	v_fmamk_f16 v55, v15, 0xb8d2, v78
	v_mul_f16_e32 v107, 0xbbf7, v32
	v_add_f16_e32 v16, v41, v16
	v_fma_f16 v41, v25, 0x3b76, -v79
	v_add_f16_e32 v14, v53, v13
	v_add_f16_e32 v13, v55, v42
	v_fmamk_f16 v42, v40, 0x2de8, v107
	v_mul_f16_e32 v108, 0xb1e1, v30
	v_mul_f16_e32 v109, 0xbbf7, v101
	v_add_f16_e32 v16, v41, v16
	v_mul_f16_e32 v110, 0x3bb2, v28
	v_add_f16_e32 v41, v20, v42
	v_fmamk_f16 v42, v39, 0xbbdd, v108
	v_fma_f16 v55, v35, 0x2de8, -v109
	v_mul_f16_e32 v111, 0xb1e1, v98
	v_mul_f16_e32 v112, 0x35c8, v26
	;; [unrolled: 1-line block ×3, first 2 shown]
	v_add_f16_e32 v41, v42, v41
	v_fmamk_f16 v42, v38, 0xb461, v110
	v_add_f16_e32 v55, v7, v55
	v_fma_f16 v67, v34, 0xbbdd, -v111
	v_mul_f16_e32 v114, 0xbb29, v24
	v_mul_f16_e32 v115, 0x35c8, v94
	v_add_f16_e32 v41, v42, v41
	v_fmamk_f16 v42, v37, 0x3b76, v112
	v_add_f16_e32 v55, v67, v55
	v_fma_f16 v67, v33, 0xb461, -v113
	v_mul_f16_e32 v116, 0xb836, v21
	v_mul_f16_e32 v97, 0xbb29, v103
	;; [unrolled: 6-line block ×3, first 2 shown]
	v_add_f16_e32 v41, v42, v41
	v_fmamk_f16 v42, v18, 0xbacd, v116
	v_add_f16_e32 v55, v67, v55
	v_fma_f16 v67, v29, 0x3722, -v97
	v_mul_f16_e32 v93, 0xb836, v104
	v_fma_f16 v53, v22, 0xb8d2, -v83
	v_add_f16_e32 v41, v42, v41
	v_fmamk_f16 v42, v17, 0xb8d2, v100
	v_mul_f16_e32 v87, 0x3964, v8
	v_add_f16_e32 v55, v67, v55
	v_fma_f16 v67, v27, 0xbacd, -v93
	v_mul_f16_e32 v89, 0x3a62, v105
	v_mul_f16_e32 v117, 0xbb29, v32
	v_add_f16_e32 v41, v42, v41
	v_fmamk_f16 v42, v15, 0x39e9, v87
	v_add_f16_e32 v55, v67, v55
	v_fma_f16 v67, v25, 0xb8d2, -v89
	v_add_f16_e32 v16, v53, v16
	v_fmamk_f16 v53, v40, 0x3722, v117
	v_mul_f16_e32 v118, 0xba62, v30
	v_mul_f16_e32 v119, 0xbb29, v101
	v_add_f16_e32 v41, v42, v41
	v_add_f16_e32 v55, v67, v55
	;; [unrolled: 1-line block ×3, first 2 shown]
	v_fmamk_f16 v53, v39, 0xb8d2, v118
	v_mul_f16_e32 v120, 0x31e1, v28
	v_fma_f16 v67, v35, 0x3722, -v119
	v_mul_f16_e32 v122, 0xba62, v98
	v_mul_f16_e32 v123, 0x3bb2, v26
	v_add_f16_e32 v42, v53, v42
	v_fmamk_f16 v53, v38, 0xbbdd, v120
	v_add_f16_e32 v67, v7, v67
	v_fma_f16 v124, v34, 0xb8d2, -v122
	v_mul_f16_e32 v125, 0x31e1, v99
	v_mul_f16_e32 v126, 0x3964, v24
	v_add_f16_e32 v42, v53, v42
	v_fmamk_f16 v53, v37, 0xb461, v123
	v_add_f16_e32 v67, v124, v67
	v_fma_f16 v124, v33, 0xbbdd, -v125
	v_mul_f16_e32 v127, 0x3bb2, v94
	v_mul_f16_e64 v128, 0xb5c8, v21
	v_add_f16_e32 v42, v53, v42
	v_fmamk_f16 v53, v36, 0x39e9, v126
	v_add_f16_e32 v67, v124, v67
	v_fma_f16 v124, v31, 0xb461, -v127
	v_mul_f16_e64 v129, 0x3964, v103
	v_mul_f16_e64 v130, 0xbbf7, v19
	v_add_f16_e32 v42, v53, v42
	v_fma_f16 v53, 0x3b76, v18, v128
	v_add_f16_e32 v67, v124, v67
	v_fma_f16 v124, v29, 0x39e9, -v129
	v_mul_f16_e64 v131, 0xb5c8, v104
	v_fma_f16 v132, 0x2de8, v17, v130
	v_add_f16_e32 v53, v53, v42
	v_mul_f16_e32 v121, 0x3964, v106
	v_add_f16_e32 v67, v124, v67
	v_mul_f16_e32 v124, 0xb964, v32
	v_mul_f16_e32 v42, 0xbacd, v15
	v_fma_f16 v133, v27, 0x3b76, -v131
	v_mul_f16_e64 v134, 0xbbf7, v105
	v_add_f16_e64 v53, v132, v53
	v_fma_f16 v132, 0x39e9, v40, v124
	v_mul_f16_e64 v136, 0xbbf7, v30
	v_fma_f16 v135, v22, 0x39e9, -v121
	v_fma_f16 v137, 0xb836, v8, v42
	v_add_f16_e64 v67, v133, v67
	v_fma_f16 v133, v25, 0x2de8, -v134
	v_add_f16_e64 v132, v20, v132
	v_fma_f16 v138, 0x2de8, v39, v136
	v_mul_f16_e64 v139, 0xba62, v28
	v_mul_f16_e64 v140, 0xb836, v106
	v_add_f16_e64 v55, v135, v55
	v_add_f16_e64 v53, v137, v53
	v_add_f16_e64 v132, v138, v132
	v_fma_f16 v135, 0xb8d2, v38, v139
	v_mul_f16_e64 v137, 0xb1e1, v26
	v_add_f16_e64 v67, v133, v67
	v_pk_mul_f16 v133, 0x3b7639e9, v35
	v_fma_f16 v138, v22, 0xbacd, -v140
	v_add_f16_e64 v132, v135, v132
	v_fma_f16 v135, 0xbbdd, v37, v137
	v_mul_f16_e64 v141, 0x3836, v24
	v_pk_fma_f16 v142, 0xb964b5c8, v32, v133 op_sel:[0,0,1] op_sel_hi:[1,1,0]
	v_pk_mul_f16 v143, 0x39e92de8, v34
	v_pk_fma_f16 v133, 0xb964b5c8, v32, v133 op_sel:[0,0,1] op_sel_hi:[1,1,0] neg_lo:[0,1,0] neg_hi:[0,1,0]
	v_add_f16_e64 v67, v138, v67
	v_add_f16_e64 v132, v135, v132
	v_fma_f16 v135, 0xbacd, v36, v141
	v_pk_fma_f16 v138, 0xbbf7b964, v30, v143 op_sel:[0,0,1] op_sel_hi:[1,1,0]
	v_bfi_b32 v144, 0xffff, v142, v133
	v_pk_fma_f16 v143, 0xbbf7b964, v30, v143 op_sel:[0,0,1] op_sel_hi:[1,1,0] neg_lo:[0,1,0] neg_hi:[0,1,0]
	v_pk_mul_f16 v145, 0x3722b8d2, v33
	v_add_f16_e64 v132, v135, v132
	v_mul_f16_e64 v135, 0x3bb2, v21
	v_pk_add_f16 v144, v7, v144 op_sel:[1,0] op_sel_hi:[0,1]
	v_bfi_b32 v146, 0xffff, v138, v143
	v_pk_fma_f16 v147, 0xba62bb29, v28, v145 op_sel:[0,0,1] op_sel_hi:[1,1,0]
	v_pk_fma_f16 v145, 0xba62bb29, v28, v145 op_sel:[0,0,1] op_sel_hi:[1,1,0] neg_lo:[0,1,0] neg_hi:[0,1,0]
	v_pk_mul_f16 v148, 0x2de8bbdd, v31
	v_fma_f16 v149, 0xb461, v18, v135
	v_mul_f16_e64 v150, 0x3b29, v19
	v_pk_add_f16 v144, v146, v144
	v_bfi_b32 v146, 0xffff, v147, v145
	v_pk_fma_f16 v151, 0xb1e1bbf7, v26, v148 op_sel:[0,0,1] op_sel_hi:[1,1,0]
	v_pk_fma_f16 v148, 0xb1e1bbf7, v26, v148 op_sel:[0,0,1] op_sel_hi:[1,1,0] neg_lo:[0,1,0] neg_hi:[0,1,0]
	v_pk_mul_f16 v152, 0xb461bacd, v29
	v_add_f16_e64 v132, v149, v132
	v_fma_f16 v149, 0x3722, v17, v150
	v_pk_add_f16 v144, v146, v144
	v_bfi_b32 v146, 0xffff, v151, v148
	v_pk_fma_f16 v153, 0x3836bbb2, v24, v152 op_sel:[0,0,1] op_sel_hi:[1,1,0]
	v_pk_fma_f16 v152, 0x3836bbb2, v24, v152 op_sel:[0,0,1] op_sel_hi:[1,1,0] neg_lo:[0,1,0] neg_hi:[0,1,0]
	v_add_f16_e64 v132, v149, v132
	v_pk_mul_f16 v149, 0xb8d2b461, v27
	v_pk_add_f16 v144, v146, v144
	v_mul_f16_e32 v101, 0xb5c8, v101
	v_bfi_b32 v146, 0xffff, v153, v152
	v_pk_mul_f16 v156, 0xbacd3722, v25
	v_pk_fma_f16 v155, 0x3bb2ba62, v21, v149 op_sel:[0,0,1] op_sel_hi:[1,1,0]
	v_pk_fma_f16 v149, 0x3bb2ba62, v21, v149 op_sel:[0,0,1] op_sel_hi:[1,1,0] neg_lo:[0,1,0] neg_hi:[0,1,0]
	v_mul_f16_e64 v157, 0xb964, v98
	v_pk_add_f16 v144, v146, v144
	v_fma_f16 v146, v35, 0x3b76, -v101
	v_pk_fma_f16 v98, 0x3b29b836, v19, v156 op_sel:[0,0,1] op_sel_hi:[1,1,0]
	v_bfi_b32 v158, 0xffff, v155, v149
	v_pk_fma_f16 v156, 0x3b29b836, v19, v156 op_sel:[0,0,1] op_sel_hi:[1,1,0] neg_lo:[0,1,0] neg_hi:[0,1,0]
	v_fma_f16 v159, v34, 0x39e9, -v157
	v_add_f16_e64 v146, v7, v146
	v_mul_f16_e32 v99, 0xbb29, v99
	v_pk_add_f16 v144, v158, v144
	v_bfi_b32 v158, 0xffff, v98, v156
	v_mul_f16_e32 v94, 0xbbf7, v94
	v_add_f16_e64 v146, v159, v146
	v_fma_f16 v159, v33, 0x3722, -v99
	v_mul_f16_e32 v103, 0xbbb2, v103
	v_pk_add_f16 v144, v158, v144
	v_fma_f16 v158, v31, 0x2de8, -v94
	v_fma_f16 v50, v40, 0xbacd, -v50
	v_add_f16_e64 v146, v159, v146
	v_mul_f16_e32 v104, 0xba62, v104
	v_fma_f16 v49, v39, 0x3722, -v49
	v_mul_f16_e32 v105, 0xb836, v105
	v_add_f16_e32 v50, v20, v50
	v_add_f16_e64 v146, v158, v146
	v_fma_f16 v158, v29, 0xb461, -v103
	v_fma_f16 v48, v38, 0x2de8, -v48
	v_mul_f16_e32 v106, 0xb1e1, v106
	v_add_f16_e32 v49, v49, v50
	v_fma_f16 v47, v37, 0xb8d2, -v47
	v_add_f16_e64 v146, v158, v146
	v_fma_f16 v158, v27, 0xb8d2, -v104
	v_fma_f16 v46, v36, 0x3b76, -v46
	v_add_f16_e32 v48, v48, v49
	v_fmac_f16_e32 v60, 0xbacd, v35
	v_fma_f16 v45, v18, 0xbbdd, -v45
	v_add_f16_e64 v50, v158, v146
	v_fma_f16 v146, v25, 0xbacd, -v105
	v_add_f16_e32 v47, v47, v48
	v_add_f16_e32 v60, v7, v60
	v_fmac_f16_e32 v54, 0x3722, v34
	v_fma_f16 v43, v17, 0x39e9, -v43
	v_add_f16_e64 v49, v146, v50
	v_fma_f16 v50, v22, 0xbbdd, -v106
	v_add_f16_e32 v46, v46, v47
	v_fmac_f16_e32 v52, 0x2de8, v33
	v_fma_f16 v44, v15, 0xb461, -v44
	v_fmac_f16_e32 v51, 0xb8d2, v31
	v_add_f16_e32 v48, v50, v49
	v_fma_f16 v49, v40, 0xb8d2, -v69
	v_add_f16_e32 v45, v45, v46
	v_add_f16_e32 v50, v54, v60
	v_fmac_f16_e32 v59, 0x3b76, v29
	v_fmac_f16_e32 v56, 0xbbdd, v27
	v_add_f16_e32 v47, v20, v49
	v_fma_f16 v49, v39, 0xb461, -v70
	v_add_f16_e32 v43, v43, v45
	v_add_f16_e32 v50, v52, v50
	v_fma_f16 v52, v39, 0xbbdd, -v108
	v_fmac_f16_e32 v119, 0x3722, v35
	v_add_f16_e32 v46, v49, v47
	v_fma_f16 v47, v38, 0x3b76, -v71
	v_add_f16_e32 v43, v44, v43
	v_add_f16_e32 v49, v51, v50
	v_fma_f16 v50, v39, 0xbacd, -v81
	v_fma_f16 v51, v40, 0x2de8, -v107
	v_add_f16_e32 v45, v47, v46
	v_fma_f16 v46, v37, 0xbacd, -v73
	v_add_f16_e32 v47, v59, v49
	;; [unrolled: 2-line block ×3, first 2 shown]
	v_fmac_f16_e32 v122, 0xb8d2, v34
	v_add_f16_e32 v44, v46, v45
	v_fma_f16 v45, v36, 0x2de8, -v66
	v_add_f16_e32 v49, v20, v49
	v_add_f16_e32 v46, v56, v47
	;; [unrolled: 1-line block ×3, first 2 shown]
	v_fmac_f16_e32 v125, 0xbbdd, v33
	v_add_f16_e32 v44, v45, v44
	v_fma_f16 v45, v18, 0x39e9, -v74
	v_fma_f16 v54, v15, 0xb8d2, -v78
	v_fmac_f16_e32 v127, 0xb461, v31
	v_fmac_f16_e32 v57, 0x39e9, v25
	v_fmac_f16_e64 v129, 0x39e9, v29
	v_add_f16_e32 v44, v45, v44
	v_fma_f16 v45, v17, 0xbbdd, -v75
	v_fmac_f16_e64 v131, 0x3b76, v27
	v_add_f16_e32 v46, v57, v46
	v_fma_f16 v57, v39, 0xb8d2, -v118
	v_fma_f16 v39, v39, 0x2de8, -v136
	v_add_f16_e32 v44, v45, v44
	v_fma_f16 v45, v15, 0x3722, -v68
	v_fmac_f16_e64 v134, 0x2de8, v25
	v_fmac_f16_e64 v140, 0xbacd, v22
	v_fmac_f16_e32 v101, 0x3b76, v35
	v_fmac_f16_e32 v58, 0xb461, v22
	v_add_f16_e32 v44, v45, v44
	v_add_f16_e32 v45, v50, v49
	v_fma_f16 v49, v38, 0x39e9, -v72
	v_fmac_f16_e64 v157, 0x39e9, v34
	v_add_f16_e32 v46, v58, v46
	v_fma_f16 v58, v18, 0x3b76, -v128
	v_fmac_f16_e32 v99, 0x3722, v33
	v_add_f16_e32 v45, v49, v45
	v_fma_f16 v49, v37, 0x3722, -v84
	v_mul_f16_e64 v154, 0x35c8, v8
	v_fmac_f16_e32 v94, 0x2de8, v31
	v_fmac_f16_e32 v103, 0xb461, v29
	;; [unrolled: 1-line block ×3, first 2 shown]
	v_add_f16_e32 v45, v49, v45
	v_fma_f16 v49, v36, 0xbbdd, -v90
	v_fma_f16 v160, 0x3b76, v15, v154
	v_fmac_f16_e32 v76, 0xb8d2, v35
	v_fmac_f16_e32 v77, 0xb461, v34
	;; [unrolled: 1-line block ×3, first 2 shown]
	v_add_f16_e32 v45, v49, v45
	v_fma_f16 v49, v18, 0x2de8, -v102
	v_fmac_f16_e32 v92, 0xbacd, v34
	v_fmac_f16_e32 v109, 0x2de8, v35
	;; [unrolled: 1-line block ×3, first 2 shown]
	v_pk_mul_f16 v34, 0x3b76, v34 op_sel_hi:[0,1]
	v_add_f16_e32 v45, v49, v45
	v_fma_f16 v49, v17, 0x3b76, -v95
	v_add_f16_e32 v47, v7, v76
	v_fmac_f16_e32 v61, 0x3b76, v33
	v_add_f16_e32 v50, v7, v86
	v_fmac_f16_e32 v96, 0x39e9, v33
	v_add_f16_e32 v45, v49, v45
	v_add_f16_e32 v49, v52, v51
	v_fma_f16 v51, v38, 0xb461, -v110
	v_add_f16_e32 v52, v7, v109
	v_fmac_f16_e32 v113, 0xb461, v33
	v_add_f16_e32 v45, v54, v45
	v_fma_f16 v54, v40, 0x3722, -v117
	v_add_f16_e32 v49, v51, v49
	v_fma_f16 v51, v37, 0x3b76, -v112
	v_fma_f16 v40, v40, 0x39e9, -v124
	v_pk_mul_f16 v33, 0xbacd, v33 op_sel_hi:[0,1]
	v_add_f16_e32 v54, v20, v54
	v_fmac_f16_e32 v62, 0xbacd, v31
	v_add_f16_e32 v49, v51, v49
	v_fma_f16 v51, v36, 0x3722, -v114
	v_add_f16_e32 v40, v20, v40
	v_add_f16_e32 v54, v57, v54
	v_add_f16_e64 v20, v20, v133
	v_fma_f16 v57, v15, 0x39e9, -v87
	v_add_f16_e32 v49, v51, v49
	v_fma_f16 v51, v18, 0xbacd, -v116
	v_add_f16_e32 v39, v39, v40
	v_add_f16_e64 v20, v143, v20
	v_fma_f16 v18, v18, 0xb461, -v135
	v_fma_f16 v15, v15, 0x3b76, -v154
	v_add_f16_e32 v49, v51, v49
	v_fma_f16 v51, v17, 0xb8d2, -v100
	v_add_f16_e64 v20, v145, v20
	v_fmac_f16_e32 v85, 0x3722, v31
	v_fmac_f16_e32 v115, 0x3b76, v31
	v_pk_mul_f16 v31, 0x39e9, v31 op_sel_hi:[0,1]
	v_add_f16_e32 v49, v51, v49
	v_add_f16_e32 v51, v122, v56
	v_fma_f16 v56, v38, 0xbbdd, -v120
	v_fma_f16 v38, v38, 0xb8d2, -v139
	v_add_f16_e64 v20, v148, v20
	v_add_f16_e32 v47, v77, v47
	v_add_f16_e32 v51, v125, v51
	;; [unrolled: 1-line block ×3, first 2 shown]
	v_fma_f16 v56, v37, 0xb461, -v123
	v_add_f16_e32 v38, v38, v39
	v_fma_f16 v37, v37, 0xbbdd, -v137
	v_add_f16_e32 v51, v127, v51
	v_add_f16_e64 v20, v152, v20
	v_add_f16_e32 v54, v56, v54
	v_fma_f16 v56, v36, 0x39e9, -v126
	v_add_f16_e32 v37, v37, v38
	v_add_f16_e64 v51, v129, v51
	v_fma_f16 v36, v36, 0xbacd, -v141
	v_pk_add_f16 v38, v7, v142 op_sel:[1,0] op_sel_hi:[0,1]
	v_add_f16_e32 v54, v56, v54
	v_add_f16_e64 v20, v149, v20
	v_add_f16_e64 v51, v131, v51
	v_add_f16_e32 v36, v36, v37
	v_pk_add_f16 v37, v138, v38
	v_add_f16_e32 v54, v58, v54
	v_fma_f16 v58, v17, 0x2de8, -v130
	v_add_f16_e64 v40, v134, v51
	v_add_f16_e32 v18, v18, v36
	v_fma_f16 v17, v17, 0x3722, -v150
	v_pk_add_f16 v36, v147, v37
	v_fmac_f16_e32 v63, 0x2de8, v29
	v_add_f16_e64 v39, v140, v40
	v_add_f16_e32 v40, v7, v101
	v_add_f16_e32 v17, v17, v18
	v_pk_add_f16 v18, v151, v36
	v_add_f16_e32 v50, v92, v50
	v_fmac_f16_e32 v88, 0xbbdd, v29
	v_add_f16_e64 v40, v157, v40
	v_add_f16_e32 v15, v15, v17
	v_pk_add_f16 v17, v153, v18
	v_add_f16_e64 v18, v156, v20
	v_pk_mul_f16 v20, 0xbbdd, v35 op_sel_hi:[0,1]
	v_add_f16_e32 v38, v99, v40
	v_add_f16_e32 v52, v111, v52
	v_fmac_f16_e32 v97, 0x3722, v29
	v_pk_mul_f16 v29, 0xb8d2, v29 op_sel_hi:[0,1]
	v_add_f16_e32 v47, v61, v47
	v_add_f16_e32 v37, v94, v38
	v_fmac_f16_e32 v64, 0x39e9, v27
	v_add_f16_e32 v50, v96, v50
	v_fmac_f16_e32 v82, 0x2de8, v27
	v_add_f16_e32 v52, v113, v52
	v_add_f16_e32 v36, v103, v37
	v_fmac_f16_e32 v93, 0xbacd, v27
	v_pk_mul_f16 v27, 0x3722, v27 op_sel_hi:[0,1]
	v_add_f16_e32 v47, v62, v47
	v_add_f16_e64 v132, v160, v132
	v_add_f16_e32 v35, v104, v36
	v_pk_fma_f16 v36, 0xb1e1, v32, v20 op_sel:[0,0,1] op_sel_hi:[0,1,0] neg_lo:[0,1,0] neg_hi:[0,1,0]
	v_pk_fma_f16 v20, 0xb1e1, v32, v20 op_sel:[0,0,1] op_sel_hi:[0,1,0]
	v_pk_mul_f16 v160, 0xbbdd3b76, v22
	v_fmac_f16_e32 v65, 0xbbdd, v25
	v_add_f16_e32 v50, v85, v50
	v_pk_add_f16 v32, v7, v36 op_sel:[1,0] op_sel_hi:[0,1]
	v_pk_fma_f16 v36, 0x35c8, v30, v34 op_sel:[0,0,1] op_sel_hi:[0,1,0] neg_lo:[0,1,0] neg_hi:[0,1,0]
	v_pk_add_f16 v7, v7, v20 op_sel:[1,0] op_sel_hi:[0,1]
	v_pk_fma_f16 v20, 0x35c8, v30, v34 op_sel:[0,0,1] op_sel_hi:[0,1,0]
	v_pk_fma_f16 v34, 0xb836, v28, v33 op_sel:[0,0,1] op_sel_hi:[0,1,0] neg_lo:[0,1,0] neg_hi:[0,1,0]
	v_fmac_f16_e32 v79, 0x3b76, v25
	v_pk_add_f16 v32, v36, v32
	v_add_f16_e32 v52, v115, v52
	v_pk_add_f16 v7, v20, v7
	v_pk_fma_f16 v20, 0xb836, v28, v33 op_sel:[0,0,1] op_sel_hi:[0,1,0]
	v_pk_fma_f16 v33, 0x3964, v26, v31 op_sel:[0,0,1] op_sel_hi:[0,1,0] neg_lo:[0,1,0] neg_hi:[0,1,0]
	v_pk_add_f16 v32, v34, v32
	v_fmac_f16_e32 v89, 0xb8d2, v25
	v_add_f16_e32 v49, v57, v49
	v_pk_add_f16 v7, v20, v7
	v_pk_fma_f16 v20, 0x3964, v26, v31 op_sel:[0,0,1] op_sel_hi:[0,1,0]
	v_pk_add_f16 v31, v33, v32
	v_pk_fma_f16 v32, 0xba62, v24, v29 op_sel:[0,0,1] op_sel_hi:[0,1,0] neg_lo:[0,1,0] neg_hi:[0,1,0]
	v_mul_f16_e32 v57, 0xb836, v8
	v_fmac_f16_e32 v105, 0xbacd, v25
	v_pk_add_f16 v7, v20, v7
	v_pk_fma_f16 v20, 0xba62, v24, v29 op_sel:[0,0,1] op_sel_hi:[0,1,0]
	v_pk_add_f16 v17, v155, v17
	v_pk_add_f16 v29, v32, v31
	v_pk_fma_f16 v31, 0x3b29, v21, v27 op_sel:[0,0,1] op_sel_hi:[0,1,0] neg_lo:[0,1,0] neg_hi:[0,1,0]
	v_pk_mul_f16 v25, 0xb461, v25 op_sel_hi:[0,1]
	v_pk_add_f16 v7, v20, v7
	v_pk_fma_f16 v20, 0x3b29, v21, v27 op_sel:[0,0,1] op_sel_hi:[0,1,0]
	v_add_f16_e32 v47, v63, v47
	v_pk_fma_f16 v159, 0x35c8b1e1, v8, v160 op_sel:[0,0,1] op_sel_hi:[1,1,0]
	v_pk_fma_f16 v161, 0x35c8b1e1, v8, v160 op_sel:[0,0,1] op_sel_hi:[1,1,0] neg_lo:[0,1,0] neg_hi:[0,1,0]
	v_fmac_f16_e32 v91, 0x3722, v22
	v_add_f16_e32 v50, v88, v50
	v_fmac_f16_e32 v83, 0xb8d2, v22
	v_add_f16_e32 v52, v97, v52
	v_fmac_f16_e32 v121, 0x39e9, v22
	v_pk_mul_f16 v59, 0x35c8b1e1, v8
	v_fmac_f16_e32 v106, 0xbbdd, v22
	v_pk_add_f16 v27, v31, v29
	v_pk_fma_f16 v29, 0xbbb2, v19, v25 op_sel:[0,0,1] op_sel_hi:[0,1,0] neg_lo:[0,1,0] neg_hi:[0,1,0]
	v_pk_mul_f16 v22, 0x2de8, v22 op_sel_hi:[0,1]
	v_pk_add_f16 v7, v20, v7
	v_pk_fma_f16 v19, 0xbbb2, v19, v25 op_sel:[0,0,1] op_sel_hi:[0,1,0]
	v_pack_b32_f16 v12, v14, v12
	v_bfi_b32 v14, 0xffff, v57, v17
	v_add_f16_e32 v47, v64, v47
	v_bfi_b32 v159, 0xffff, v159, v161
	v_add_f16_e32 v50, v82, v50
	v_add_f16_e32 v52, v93, v52
	v_pk_fma_f16 v25, 0x3bf7, v8, v22 op_sel:[0,0,1] op_sel_hi:[0,1,0] neg_lo:[0,1,0] neg_hi:[0,1,0]
	v_pk_add_f16 v7, v19, v7
	v_pk_fma_f16 v8, 0x3bf7, v8, v22 op_sel:[0,0,1] op_sel_hi:[0,1,0]
	v_pk_add_f16 v14, v42, v14 neg_lo:[0,1] neg_hi:[0,1]
	v_pk_add_f16 v17, v98, v17
	v_pack_b32_f16 v19, v58, v160
	v_bfi_b32 v22, 0xffff, v54, v59
	v_pk_add_f16 v20, v29, v27
	v_add_f16_e32 v47, v65, v47
	v_pk_add_f16 v144, v159, v144
	v_add_f16_e32 v50, v79, v50
	v_add_f16_e32 v52, v89, v52
	;; [unrolled: 1-line block ×3, first 2 shown]
	v_pk_add_f16 v7, v8, v7
	v_bfi_b32 v8, 0xffff, v14, v17
	v_pk_add_f16 v14, v19, v22
	v_lshl_add_u32 v56, v3, 6, v0
	v_pack_b32_f16 v10, v11, v10
	v_pk_add_f16 v11, v25, v20
	v_add_f16_e32 v47, v91, v47
	v_add_f16_e32 v50, v83, v50
	;; [unrolled: 1-line block ×3, first 2 shown]
	v_add_f16_e64 v18, v161, v18
	v_add_f16_e32 v30, v106, v35
	v_alignbit_b32 v28, v132, v144, 16
	v_pack_b32_f16 v26, v48, v144
	v_pk_add_f16 v8, v8, v14
	v_pack_b32_f16 v24, v55, v41
	v_pack_b32_f16 v21, v67, v53
	;; [unrolled: 1-line block ×3, first 2 shown]
	ds_store_2addr_b32 v56, v9, v10 offset1:7
	v_alignbit_b32 v9, v11, v7, 16
	v_alignbit_b32 v7, v7, v11, 16
	v_pack_b32_f16 v10, v47, v44
	v_pack_b32_f16 v11, v46, v43
	;; [unrolled: 1-line block ×4, first 2 shown]
	v_alignbit_b32 v15, v15, v8, 16
	v_pack_b32_f16 v8, v39, v8
	v_pack_b32_f16 v17, v30, v18
	ds_store_2addr_b32 v56, v26, v28 offset0:1 offset1:2
	ds_store_2addr_b32 v56, v21, v24 offset0:3 offset1:4
	;; [unrolled: 1-line block ×7, first 2 shown]
	ds_store_b32 v56, v17 offset:64
.LBB0_21:
	s_wait_alu 0xfffe
	s_or_b32 exec_lo, exec_lo, s1
	v_and_b32_e32 v7, 0xff, v3
	global_wb scope:SCOPE_SE
	s_wait_dscnt 0x0
	s_barrier_signal -1
	s_barrier_wait -1
	global_inv scope:SCOPE_SE
	v_mul_lo_u16 v7, 0xf1, v7
	v_add_nc_u32_e32 v8, 0xa00, v0
	v_mul_u32_u24_e32 v31, 9, v3
	s_delay_alu instid0(VALU_DEP_3) | instskip(NEXT) | instid1(VALU_DEP_2)
	v_lshrrev_b16 v28, 12, v7
	v_lshlrev_b32_e32 v31, 2, v31
	s_delay_alu instid0(VALU_DEP_2) | instskip(SKIP_1) | instid1(VALU_DEP_2)
	v_mul_lo_u16 v7, v28, 17
	v_and_b32_e32 v28, 0xffff, v28
	v_sub_nc_u16 v7, v3, v7
	s_delay_alu instid0(VALU_DEP_2) | instskip(NEXT) | instid1(VALU_DEP_2)
	v_mul_u32_u24_e32 v28, 0x2a8, v28
	v_and_b32_e32 v29, 0xff, v7
	s_delay_alu instid0(VALU_DEP_1) | instskip(SKIP_1) | instid1(VALU_DEP_2)
	v_mul_u32_u24_e32 v7, 9, v29
	v_lshlrev_b32_e32 v29, 2, v29
	v_lshlrev_b32_e32 v7, 2, v7
	s_delay_alu instid0(VALU_DEP_2)
	v_add3_u32 v28, 0, v28, v29
	s_clause 0x2
	global_load_b128 v[9:12], v7, s[8:9]
	global_load_b128 v[13:16], v7, s[8:9] offset:16
	global_load_b32 v30, v7, s[8:9] offset:32
	v_add_nc_u32_e32 v7, 0xf00, v0
	ds_load_2addr_b32 v[17:18], v0 offset1:170
	ds_load_2addr_b32 v[19:20], v23 offset0:80 offset1:250
	ds_load_2addr_b32 v[21:22], v4 offset0:84 offset1:254
	ds_load_2addr_b32 v[24:25], v7 offset0:60 offset1:230
	ds_load_2addr_b32 v[26:27], v8 offset0:40 offset1:210
	global_wb scope:SCOPE_SE
	s_wait_loadcnt_dscnt 0x0
	s_barrier_signal -1
	s_barrier_wait -1
	global_inv scope:SCOPE_SE
	v_lshrrev_b32_e32 v35, 16, v18
	v_lshrrev_b32_e32 v33, 16, v19
	;; [unrolled: 1-line block ×19, first 2 shown]
	v_mul_f16_e32 v50, v29, v35
	v_mul_f16_e32 v29, v29, v18
	;; [unrolled: 1-line block ×18, first 2 shown]
	v_fma_f16 v18, v9, v18, -v50
	v_fmac_f16_e32 v29, v9, v35
	v_fma_f16 v9, v10, v21, -v51
	v_fmac_f16_e32 v42, v10, v36
	;; [unrolled: 2-line block ×9, first 2 shown]
	v_add_f16_e32 v19, v17, v9
	v_add_f16_e32 v20, v11, v13
	v_sub_f16_e32 v21, v42, v48
	v_sub_f16_e32 v24, v9, v11
	v_sub_f16_e32 v25, v15, v13
	v_add_f16_e32 v26, v9, v15
	v_add_f16_e32 v33, v32, v42
	;; [unrolled: 1-line block ×3, first 2 shown]
	v_sub_f16_e32 v36, v42, v44
	v_add_f16_e32 v38, v42, v48
	v_sub_f16_e32 v39, v44, v42
	v_add_f16_e32 v41, v18, v10
	v_add_f16_e32 v42, v12, v14
	v_add_f16_e32 v58, v45, v47
	v_add_f16_e32 v54, v10, v16
	v_add_f16_e32 v62, v43, v49
	v_sub_f16_e32 v27, v11, v9
	v_sub_f16_e32 v30, v13, v15
	v_sub_f16_e32 v35, v11, v13
	v_sub_f16_e32 v37, v48, v46
	v_sub_f16_e32 v50, v43, v49
	v_sub_f16_e32 v52, v10, v12
	v_sub_f16_e32 v55, v12, v10
	v_add_f16_e32 v57, v29, v43
	v_sub_f16_e32 v10, v10, v16
	v_sub_f16_e32 v59, v12, v14
	v_add_f16_e32 v11, v19, v11
	v_fma_f16 v19, -0.5, v20, v17
	v_add_f16_e32 v20, v24, v25
	v_fmac_f16_e32 v17, -0.5, v26
	v_add_f16_e32 v25, v33, v44
	v_fma_f16 v26, -0.5, v34, v32
	v_fmac_f16_e32 v32, -0.5, v38
	v_add_f16_e32 v12, v41, v12
	v_fma_f16 v33, -0.5, v42, v18
	v_fma_f16 v38, -0.5, v58, v29
	v_sub_f16_e32 v51, v45, v47
	v_fmac_f16_e32 v18, -0.5, v54
	v_fmac_f16_e32 v29, -0.5, v62
	v_sub_f16_e32 v40, v46, v48
	v_sub_f16_e32 v53, v16, v14
	;; [unrolled: 1-line block ×7, first 2 shown]
	v_add_f16_e32 v24, v27, v30
	v_add_f16_e32 v27, v36, v37
	;; [unrolled: 1-line block ×4, first 2 shown]
	v_fmamk_f16 v14, v50, 0x3b9c, v33
	v_fmamk_f16 v45, v10, 0xbb9c, v38
	v_sub_f16_e32 v22, v44, v46
	v_add_f16_e32 v25, v25, v46
	v_fmamk_f16 v44, v51, 0xbb9c, v18
	v_fmac_f16_e32 v18, 0x3b9c, v51
	v_fmamk_f16 v46, v59, 0x3b9c, v29
	v_fmac_f16_e32 v29, 0xbb9c, v59
	v_sub_f16_e32 v9, v9, v15
	v_fmac_f16_e32 v33, 0xbb9c, v50
	v_fmac_f16_e32 v38, 0x3b9c, v10
	v_add_f16_e32 v30, v39, v40
	v_add_f16_e32 v34, v52, v53
	;; [unrolled: 1-line block ×5, first 2 shown]
	v_fmamk_f16 v43, v35, 0x3b9c, v32
	v_fmac_f16_e32 v32, 0xbb9c, v35
	v_add_f16_e32 v37, v37, v47
	v_fmac_f16_e32 v14, 0x38b4, v51
	v_fmac_f16_e32 v45, 0xb8b4, v59
	v_add_f16_e32 v36, v55, v56
	v_fmamk_f16 v13, v21, 0x3b9c, v19
	v_fmac_f16_e32 v19, 0xbb9c, v21
	v_fmamk_f16 v41, v22, 0xbb9c, v17
	v_fmac_f16_e32 v17, 0x3b9c, v22
	v_fmac_f16_e32 v44, 0x38b4, v50
	;; [unrolled: 1-line block ×5, first 2 shown]
	v_fmamk_f16 v42, v9, 0xbb9c, v26
	v_fmac_f16_e32 v26, 0x3b9c, v9
	v_fmac_f16_e32 v33, 0xb8b4, v51
	;; [unrolled: 1-line block ×3, first 2 shown]
	v_add_f16_e32 v11, v11, v15
	v_add_f16_e32 v15, v25, v48
	v_fmac_f16_e32 v43, 0xb8b4, v9
	v_fmac_f16_e32 v32, 0x38b4, v9
	v_add_f16_e32 v9, v12, v16
	v_add_f16_e32 v12, v37, v49
	v_fmac_f16_e32 v14, 0x34f2, v34
	v_fmac_f16_e32 v45, 0x34f2, v39
	;; [unrolled: 1-line block ×14, first 2 shown]
	v_add_f16_e32 v10, v11, v9
	v_add_f16_e32 v16, v15, v12
	v_sub_f16_e32 v9, v11, v9
	v_sub_f16_e32 v11, v15, v12
	v_mul_f16_e32 v12, 0x38b4, v45
	v_mul_f16_e32 v22, 0xb8b4, v14
	v_fmac_f16_e32 v13, 0x34f2, v20
	v_fmac_f16_e32 v19, 0x34f2, v20
	;; [unrolled: 1-line block ×4, first 2 shown]
	v_mul_f16_e32 v15, 0x3b9c, v46
	v_mul_f16_e32 v20, 0x34f2, v18
	;; [unrolled: 1-line block ×4, first 2 shown]
	v_fmac_f16_e32 v42, 0x34f2, v27
	v_fmac_f16_e32 v26, 0x34f2, v27
	v_mul_f16_e32 v21, 0x3a79, v33
	v_mul_f16_e32 v27, 0x3a79, v38
	v_fmac_f16_e32 v12, 0x3a79, v14
	v_fmac_f16_e32 v22, 0x3a79, v45
	;; [unrolled: 1-line block ×4, first 2 shown]
	v_pack_b32_f16 v10, v10, v16
	v_pack_b32_f16 v9, v9, v11
	v_fmac_f16_e32 v15, 0x34f2, v44
	v_fma_f16 v11, v29, 0x3b9c, -v20
	v_fmac_f16_e32 v24, 0x34f2, v46
	v_fma_f16 v16, v18, 0xbb9c, -v25
	v_fma_f16 v14, v38, 0x38b4, -v21
	;; [unrolled: 1-line block ×3, first 2 shown]
	v_add_f16_e32 v20, v13, v12
	v_add_f16_e32 v29, v42, v22
	;; [unrolled: 1-line block ×8, first 2 shown]
	v_sub_f16_e32 v12, v13, v12
	v_sub_f16_e32 v13, v41, v15
	;; [unrolled: 1-line block ×8, first 2 shown]
	v_pack_b32_f16 v19, v20, v29
	v_pack_b32_f16 v20, v21, v30
	;; [unrolled: 1-line block ×8, first 2 shown]
	ds_store_2addr_b32 v28, v10, v19 offset1:17
	ds_store_2addr_b32 v28, v20, v21 offset0:34 offset1:51
	ds_store_2addr_b32 v28, v22, v9 offset0:68 offset1:85
	;; [unrolled: 1-line block ×4, first 2 shown]
	global_wb scope:SCOPE_SE
	s_wait_dscnt 0x0
	s_barrier_signal -1
	s_barrier_wait -1
	global_inv scope:SCOPE_SE
	s_clause 0x2
	global_load_b128 v[9:12], v31, s[8:9] offset:612
	global_load_b128 v[13:16], v31, s[8:9] offset:628
	global_load_b32 v28, v31, s[8:9] offset:644
	ds_load_2addr_b32 v[17:18], v0 offset1:170
	ds_load_2addr_b32 v[19:20], v7 offset0:60 offset1:230
	ds_load_2addr_b32 v[21:22], v23 offset0:80 offset1:250
	;; [unrolled: 1-line block ×4, first 2 shown]
	global_wb scope:SCOPE_SE
	s_wait_loadcnt_dscnt 0x0
	s_barrier_signal -1
	s_barrier_wait -1
	global_inv scope:SCOPE_SE
	v_lshrrev_b32_e32 v34, 16, v18
	v_lshrrev_b32_e32 v30, 16, v19
	;; [unrolled: 1-line block ×19, first 2 shown]
	v_mul_f16_e32 v48, v39, v34
	v_mul_f16_e32 v39, v39, v18
	;; [unrolled: 1-line block ×18, first 2 shown]
	v_fma_f16 v18, v9, v18, -v48
	v_fmac_f16_e32 v39, v9, v34
	v_fma_f16 v9, v10, v24, -v49
	v_fmac_f16_e32 v40, v10, v35
	;; [unrolled: 2-line block ×9, first 2 shown]
	v_add_f16_e32 v19, v17, v9
	v_add_f16_e32 v20, v11, v13
	v_sub_f16_e32 v21, v40, v46
	v_sub_f16_e32 v24, v9, v11
	;; [unrolled: 1-line block ×3, first 2 shown]
	v_add_f16_e32 v26, v9, v15
	v_add_f16_e32 v30, v29, v40
	;; [unrolled: 1-line block ×3, first 2 shown]
	v_sub_f16_e32 v33, v40, v42
	v_add_f16_e32 v35, v40, v46
	v_sub_f16_e32 v36, v42, v40
	v_add_f16_e32 v38, v18, v10
	v_add_f16_e32 v40, v12, v14
	;; [unrolled: 1-line block ×5, first 2 shown]
	v_sub_f16_e32 v27, v11, v9
	v_sub_f16_e32 v28, v13, v15
	;; [unrolled: 1-line block ×7, first 2 shown]
	v_add_f16_e32 v55, v39, v41
	v_sub_f16_e32 v10, v10, v16
	v_sub_f16_e32 v57, v12, v14
	v_add_f16_e32 v11, v19, v11
	v_fma_f16 v19, -0.5, v20, v17
	v_add_f16_e32 v20, v24, v25
	v_fmac_f16_e32 v17, -0.5, v26
	v_add_f16_e32 v25, v30, v42
	v_fma_f16 v26, -0.5, v31, v29
	v_fmac_f16_e32 v29, -0.5, v35
	v_add_f16_e32 v12, v38, v12
	v_fma_f16 v30, -0.5, v40, v18
	v_fma_f16 v35, -0.5, v56, v39
	v_sub_f16_e32 v49, v43, v45
	v_fmac_f16_e32 v18, -0.5, v52
	v_fmac_f16_e32 v39, -0.5, v60
	v_sub_f16_e32 v37, v44, v46
	v_sub_f16_e32 v51, v16, v14
	;; [unrolled: 1-line block ×7, first 2 shown]
	v_add_f16_e32 v24, v27, v28
	v_add_f16_e32 v27, v33, v34
	;; [unrolled: 1-line block ×4, first 2 shown]
	v_fmamk_f16 v14, v48, 0x3b9c, v30
	v_fmamk_f16 v43, v10, 0xbb9c, v35
	v_sub_f16_e32 v22, v42, v44
	v_add_f16_e32 v25, v25, v44
	v_fmamk_f16 v42, v49, 0xbb9c, v18
	v_fmac_f16_e32 v18, 0x3b9c, v49
	v_fmamk_f16 v44, v57, 0x3b9c, v39
	v_fmac_f16_e32 v39, 0xbb9c, v57
	v_sub_f16_e32 v9, v9, v15
	v_fmac_f16_e32 v30, 0xbb9c, v48
	v_fmac_f16_e32 v35, 0x3b9c, v10
	v_add_f16_e32 v28, v36, v37
	v_add_f16_e32 v31, v50, v51
	;; [unrolled: 1-line block ×5, first 2 shown]
	v_fmamk_f16 v41, v32, 0x3b9c, v29
	v_fmac_f16_e32 v29, 0xbb9c, v32
	v_add_f16_e32 v34, v34, v45
	v_fmac_f16_e32 v14, 0x38b4, v49
	v_fmac_f16_e32 v43, 0xb8b4, v57
	v_add_f16_e32 v33, v53, v54
	v_fmamk_f16 v13, v21, 0x3b9c, v19
	v_fmac_f16_e32 v19, 0xbb9c, v21
	v_fmamk_f16 v38, v22, 0xbb9c, v17
	v_fmac_f16_e32 v17, 0x3b9c, v22
	v_fmac_f16_e32 v42, 0x38b4, v48
	;; [unrolled: 1-line block ×5, first 2 shown]
	v_fmamk_f16 v40, v9, 0xbb9c, v26
	v_fmac_f16_e32 v26, 0x3b9c, v9
	v_fmac_f16_e32 v30, 0xb8b4, v49
	;; [unrolled: 1-line block ×3, first 2 shown]
	v_add_f16_e32 v11, v11, v15
	v_add_f16_e32 v15, v25, v46
	v_fmac_f16_e32 v41, 0xb8b4, v9
	v_fmac_f16_e32 v29, 0x38b4, v9
	v_add_f16_e32 v9, v12, v16
	v_add_f16_e32 v12, v34, v47
	v_fmac_f16_e32 v14, 0x34f2, v31
	v_fmac_f16_e32 v43, 0x34f2, v36
	v_fmac_f16_e32 v13, 0x38b4, v22
	v_fmac_f16_e32 v19, 0xb8b4, v22
	v_fmac_f16_e32 v38, 0x38b4, v21
	v_fmac_f16_e32 v17, 0xb8b4, v21
	v_fmac_f16_e32 v42, 0x34f2, v33
	v_fmac_f16_e32 v18, 0x34f2, v33
	v_fmac_f16_e32 v44, 0x34f2, v37
	v_fmac_f16_e32 v39, 0x34f2, v37
	v_fmac_f16_e32 v40, 0xb8b4, v32
	v_fmac_f16_e32 v26, 0x38b4, v32
	v_fmac_f16_e32 v30, 0x34f2, v31
	v_fmac_f16_e32 v35, 0x34f2, v36
	v_add_f16_e32 v10, v11, v9
	v_add_f16_e32 v16, v15, v12
	v_sub_f16_e32 v9, v11, v9
	v_sub_f16_e32 v11, v15, v12
	v_mul_f16_e32 v12, 0x38b4, v43
	v_mul_f16_e32 v22, 0xb8b4, v14
	v_fmac_f16_e32 v13, 0x34f2, v20
	v_fmac_f16_e32 v19, 0x34f2, v20
	;; [unrolled: 1-line block ×4, first 2 shown]
	v_mul_f16_e32 v15, 0x3b9c, v44
	v_mul_f16_e32 v20, 0x34f2, v18
	;; [unrolled: 1-line block ×4, first 2 shown]
	v_fmac_f16_e32 v40, 0x34f2, v27
	v_fmac_f16_e32 v26, 0x34f2, v27
	v_mul_f16_e32 v21, 0x3a79, v30
	v_mul_f16_e32 v27, 0x3a79, v35
	v_fmac_f16_e32 v12, 0x3a79, v14
	v_fmac_f16_e32 v22, 0x3a79, v43
	v_fmac_f16_e32 v41, 0x34f2, v28
	v_fmac_f16_e32 v29, 0x34f2, v28
	v_pack_b32_f16 v10, v10, v16
	v_pack_b32_f16 v9, v9, v11
	v_fmac_f16_e32 v15, 0x34f2, v42
	v_fma_f16 v11, v39, 0x3b9c, -v20
	v_fmac_f16_e32 v24, 0x34f2, v44
	v_fma_f16 v16, v18, 0xbb9c, -v25
	v_fma_f16 v14, v35, 0x38b4, -v21
	;; [unrolled: 1-line block ×3, first 2 shown]
	v_add_f16_e32 v20, v13, v12
	v_add_f16_e32 v28, v40, v22
	;; [unrolled: 1-line block ×8, first 2 shown]
	v_sub_f16_e32 v12, v13, v12
	v_sub_f16_e32 v13, v38, v15
	;; [unrolled: 1-line block ×8, first 2 shown]
	v_pack_b32_f16 v19, v20, v28
	v_pack_b32_f16 v20, v21, v30
	;; [unrolled: 1-line block ×8, first 2 shown]
	ds_store_2addr_b32 v0, v10, v19 offset1:170
	ds_store_2addr_b32 v4, v20, v21 offset0:84 offset1:254
	ds_store_2addr_b32 v8, v22, v9 offset0:40 offset1:210
	;; [unrolled: 1-line block ×4, first 2 shown]
	global_wb scope:SCOPE_SE
	s_wait_dscnt 0x0
	s_barrier_signal -1
	s_barrier_wait -1
	global_inv scope:SCOPE_SE
	s_and_saveexec_b32 s0, vcc_lo
	s_cbranch_execz .LBB0_23
; %bb.22:
	v_mul_lo_u32 v0, s3, v5
	v_mul_lo_u32 v7, s2, v6
	v_mad_co_u64_u32 v[5:6], null, s2, v5, 0
	v_mov_b32_e32 v4, 0
	v_lshl_add_u32 v29, v3, 2, 0
	ds_load_2addr_b32 v[13:14], v29 offset1:170
	v_add3_u32 v6, v6, v7, v0
	v_add_nc_u32_e32 v7, 0xaa, v3
	v_lshlrev_b64_e32 v[0:1], 2, v[1:2]
	v_dual_mov_b32 v8, v4 :: v_dual_add_nc_u32 v9, 0x154, v3
	s_delay_alu instid0(VALU_DEP_4) | instskip(SKIP_3) | instid1(VALU_DEP_4)
	v_lshlrev_b64_e32 v[5:6], 2, v[5:6]
	v_lshlrev_b64_e32 v[15:16], 2, v[3:4]
	v_dual_mov_b32 v10, v4 :: v_dual_add_nc_u32 v11, 0x1fe, v3
	v_dual_mov_b32 v12, v4 :: v_dual_add_nc_u32 v17, 0x400, v29
	v_add_co_u32 v2, vcc_lo, s6, v5
	s_wait_alu 0xfffd
	v_add_co_ci_u32_e32 v5, vcc_lo, s7, v6, vcc_lo
	s_delay_alu instid0(VALU_DEP_3) | instskip(NEXT) | instid1(VALU_DEP_3)
	v_lshlrev_b64_e32 v[11:12], 2, v[11:12]
	v_add_co_u32 v31, vcc_lo, v2, v0
	s_wait_alu 0xfffd
	s_delay_alu instid0(VALU_DEP_3) | instskip(SKIP_1) | instid1(VALU_DEP_3)
	v_add_co_ci_u32_e32 v32, vcc_lo, v5, v1, vcc_lo
	v_lshlrev_b64_e32 v[0:1], 2, v[7:8]
	v_add_co_u32 v5, vcc_lo, v31, v15
	v_lshlrev_b64_e32 v[7:8], 2, v[9:10]
	s_wait_alu 0xfffd
	v_add_co_ci_u32_e32 v6, vcc_lo, v32, v16, vcc_lo
	v_dual_mov_b32 v16, v4 :: v_dual_add_nc_u32 v15, 0x2a8, v3
	v_add_nc_u32_e32 v2, 0xa00, v29
	v_add_co_u32 v0, vcc_lo, v31, v0
	v_dual_mov_b32 v20, v4 :: v_dual_add_nc_u32 v19, 0x352, v3
	s_wait_alu 0xfffd
	v_add_co_ci_u32_e32 v1, vcc_lo, v32, v1, vcc_lo
	v_add_co_u32 v7, vcc_lo, v31, v7
	v_lshlrev_b64_e32 v[15:16], 2, v[15:16]
	ds_load_2addr_b32 v[9:10], v17 offset0:84 offset1:254
	ds_load_2addr_b32 v[17:18], v2 offset0:40 offset1:210
	v_dual_mov_b32 v22, v4 :: v_dual_add_nc_u32 v21, 0x3fc, v3
	v_add_nc_u32_e32 v2, 0xf00, v29
	s_wait_alu 0xfffd
	v_add_co_ci_u32_e32 v8, vcc_lo, v32, v8, vcc_lo
	v_add_co_u32 v11, vcc_lo, v31, v11
	v_lshlrev_b64_e32 v[19:20], 2, v[19:20]
	v_dual_mov_b32 v24, v4 :: v_dual_add_nc_u32 v23, 0x4a6, v3
	s_wait_alu 0xfffd
	v_add_co_ci_u32_e32 v12, vcc_lo, v32, v12, vcc_lo
	v_add_co_u32 v15, vcc_lo, v31, v15
	ds_load_2addr_b32 v[25:26], v2 offset0:60 offset1:230
	v_lshlrev_b64_e32 v[21:22], 2, v[21:22]
	v_add_nc_u32_e32 v2, 0x1400, v29
	v_dual_mov_b32 v28, v4 :: v_dual_add_nc_u32 v27, 0x550, v3
	s_wait_alu 0xfffd
	v_add_co_ci_u32_e32 v16, vcc_lo, v32, v16, vcc_lo
	v_add_co_u32 v19, vcc_lo, v31, v19
	v_lshlrev_b64_e32 v[23:24], 2, v[23:24]
	v_add_nc_u32_e32 v3, 0x5fa, v3
	s_wait_alu 0xfffd
	v_add_co_ci_u32_e32 v20, vcc_lo, v32, v20, vcc_lo
	ds_load_2addr_b32 v[29:30], v2 offset0:80 offset1:250
	v_add_co_u32 v21, vcc_lo, v31, v21
	v_lshlrev_b64_e32 v[27:28], 2, v[27:28]
	s_wait_alu 0xfffd
	v_add_co_ci_u32_e32 v22, vcc_lo, v32, v22, vcc_lo
	v_add_co_u32 v23, vcc_lo, v31, v23
	v_lshlrev_b64_e32 v[2:3], 2, v[3:4]
	s_wait_alu 0xfffd
	v_add_co_ci_u32_e32 v24, vcc_lo, v32, v24, vcc_lo
	v_add_co_u32 v27, vcc_lo, v31, v27
	s_wait_alu 0xfffd
	v_add_co_ci_u32_e32 v28, vcc_lo, v32, v28, vcc_lo
	v_add_co_u32 v2, vcc_lo, v31, v2
	s_wait_alu 0xfffd
	v_add_co_ci_u32_e32 v3, vcc_lo, v32, v3, vcc_lo
	s_wait_dscnt 0x4
	s_clause 0x1
	global_store_b32 v[5:6], v13, off
	global_store_b32 v[0:1], v14, off
	s_wait_dscnt 0x3
	s_clause 0x1
	global_store_b32 v[7:8], v9, off
	global_store_b32 v[11:12], v10, off
	;; [unrolled: 4-line block ×5, first 2 shown]
.LBB0_23:
	s_nop 0
	s_sendmsg sendmsg(MSG_DEALLOC_VGPRS)
	s_endpgm
	.section	.rodata,"a",@progbits
	.p2align	6, 0x0
	.amdhsa_kernel fft_rtc_fwd_len1700_factors_17_10_10_wgs_170_tpt_170_halfLds_half_op_CI_CI_unitstride_sbrr_C2R_dirReg
		.amdhsa_group_segment_fixed_size 0
		.amdhsa_private_segment_fixed_size 0
		.amdhsa_kernarg_size 104
		.amdhsa_user_sgpr_count 2
		.amdhsa_user_sgpr_dispatch_ptr 0
		.amdhsa_user_sgpr_queue_ptr 0
		.amdhsa_user_sgpr_kernarg_segment_ptr 1
		.amdhsa_user_sgpr_dispatch_id 0
		.amdhsa_user_sgpr_private_segment_size 0
		.amdhsa_wavefront_size32 1
		.amdhsa_uses_dynamic_stack 0
		.amdhsa_enable_private_segment 0
		.amdhsa_system_sgpr_workgroup_id_x 1
		.amdhsa_system_sgpr_workgroup_id_y 0
		.amdhsa_system_sgpr_workgroup_id_z 0
		.amdhsa_system_sgpr_workgroup_info 0
		.amdhsa_system_vgpr_workitem_id 0
		.amdhsa_next_free_vgpr 162
		.amdhsa_next_free_sgpr 39
		.amdhsa_reserve_vcc 1
		.amdhsa_float_round_mode_32 0
		.amdhsa_float_round_mode_16_64 0
		.amdhsa_float_denorm_mode_32 3
		.amdhsa_float_denorm_mode_16_64 3
		.amdhsa_fp16_overflow 0
		.amdhsa_workgroup_processor_mode 1
		.amdhsa_memory_ordered 1
		.amdhsa_forward_progress 0
		.amdhsa_round_robin_scheduling 0
		.amdhsa_exception_fp_ieee_invalid_op 0
		.amdhsa_exception_fp_denorm_src 0
		.amdhsa_exception_fp_ieee_div_zero 0
		.amdhsa_exception_fp_ieee_overflow 0
		.amdhsa_exception_fp_ieee_underflow 0
		.amdhsa_exception_fp_ieee_inexact 0
		.amdhsa_exception_int_div_zero 0
	.end_amdhsa_kernel
	.text
.Lfunc_end0:
	.size	fft_rtc_fwd_len1700_factors_17_10_10_wgs_170_tpt_170_halfLds_half_op_CI_CI_unitstride_sbrr_C2R_dirReg, .Lfunc_end0-fft_rtc_fwd_len1700_factors_17_10_10_wgs_170_tpt_170_halfLds_half_op_CI_CI_unitstride_sbrr_C2R_dirReg
                                        ; -- End function
	.section	.AMDGPU.csdata,"",@progbits
; Kernel info:
; codeLenInByte = 12028
; NumSgprs: 41
; NumVgprs: 162
; ScratchSize: 0
; MemoryBound: 0
; FloatMode: 240
; IeeeMode: 1
; LDSByteSize: 0 bytes/workgroup (compile time only)
; SGPRBlocks: 5
; VGPRBlocks: 20
; NumSGPRsForWavesPerEU: 41
; NumVGPRsForWavesPerEU: 162
; Occupancy: 9
; WaveLimiterHint : 1
; COMPUTE_PGM_RSRC2:SCRATCH_EN: 0
; COMPUTE_PGM_RSRC2:USER_SGPR: 2
; COMPUTE_PGM_RSRC2:TRAP_HANDLER: 0
; COMPUTE_PGM_RSRC2:TGID_X_EN: 1
; COMPUTE_PGM_RSRC2:TGID_Y_EN: 0
; COMPUTE_PGM_RSRC2:TGID_Z_EN: 0
; COMPUTE_PGM_RSRC2:TIDIG_COMP_CNT: 0
	.text
	.p2alignl 7, 3214868480
	.fill 96, 4, 3214868480
	.type	__hip_cuid_8bd284fec31a0658,@object ; @__hip_cuid_8bd284fec31a0658
	.section	.bss,"aw",@nobits
	.globl	__hip_cuid_8bd284fec31a0658
__hip_cuid_8bd284fec31a0658:
	.byte	0                               ; 0x0
	.size	__hip_cuid_8bd284fec31a0658, 1

	.ident	"AMD clang version 19.0.0git (https://github.com/RadeonOpenCompute/llvm-project roc-6.4.0 25133 c7fe45cf4b819c5991fe208aaa96edf142730f1d)"
	.section	".note.GNU-stack","",@progbits
	.addrsig
	.addrsig_sym __hip_cuid_8bd284fec31a0658
	.amdgpu_metadata
---
amdhsa.kernels:
  - .args:
      - .actual_access:  read_only
        .address_space:  global
        .offset:         0
        .size:           8
        .value_kind:     global_buffer
      - .offset:         8
        .size:           8
        .value_kind:     by_value
      - .actual_access:  read_only
        .address_space:  global
        .offset:         16
        .size:           8
        .value_kind:     global_buffer
      - .actual_access:  read_only
        .address_space:  global
        .offset:         24
        .size:           8
        .value_kind:     global_buffer
      - .actual_access:  read_only
        .address_space:  global
        .offset:         32
        .size:           8
        .value_kind:     global_buffer
      - .offset:         40
        .size:           8
        .value_kind:     by_value
      - .actual_access:  read_only
        .address_space:  global
        .offset:         48
        .size:           8
        .value_kind:     global_buffer
      - .actual_access:  read_only
        .address_space:  global
        .offset:         56
        .size:           8
        .value_kind:     global_buffer
      - .offset:         64
        .size:           4
        .value_kind:     by_value
      - .actual_access:  read_only
        .address_space:  global
        .offset:         72
        .size:           8
        .value_kind:     global_buffer
      - .actual_access:  read_only
        .address_space:  global
        .offset:         80
        .size:           8
        .value_kind:     global_buffer
      - .actual_access:  read_only
        .address_space:  global
        .offset:         88
        .size:           8
        .value_kind:     global_buffer
      - .actual_access:  write_only
        .address_space:  global
        .offset:         96
        .size:           8
        .value_kind:     global_buffer
    .group_segment_fixed_size: 0
    .kernarg_segment_align: 8
    .kernarg_segment_size: 104
    .language:       OpenCL C
    .language_version:
      - 2
      - 0
    .max_flat_workgroup_size: 170
    .name:           fft_rtc_fwd_len1700_factors_17_10_10_wgs_170_tpt_170_halfLds_half_op_CI_CI_unitstride_sbrr_C2R_dirReg
    .private_segment_fixed_size: 0
    .sgpr_count:     41
    .sgpr_spill_count: 0
    .symbol:         fft_rtc_fwd_len1700_factors_17_10_10_wgs_170_tpt_170_halfLds_half_op_CI_CI_unitstride_sbrr_C2R_dirReg.kd
    .uniform_work_group_size: 1
    .uses_dynamic_stack: false
    .vgpr_count:     162
    .vgpr_spill_count: 0
    .wavefront_size: 32
    .workgroup_processor_mode: 1
amdhsa.target:   amdgcn-amd-amdhsa--gfx1201
amdhsa.version:
  - 1
  - 2
...

	.end_amdgpu_metadata
